;; amdgpu-corpus repo=ROCm/aiter kind=harvested arch=n/a opt=n/a

/root/src/amdgpu-assembly/repos/ROCm__aiter/hsa/gfx942/mla/mla_pfl_bf16_a16w16_causal_subQ128_mqa128.co:	file format elf64-amdgpu

Disassembly of section .text:

0000000000001000 <_ZN5aiter41mla_pfl_bf16_a16w16_causal_subQ128_mqa128E>:
	s_and_b32 s1, s1, 0xffff                                   // 000000001000: 8601FF01 0000FFFF
	s_load_dwordx2 s[8:9], s[0:1], 0x0                         // 000000001008: C0060200 00000000
	s_load_dwordx2 s[12:13], s[0:1], 0x10                      // 000000001010: C0060300 00000010
	s_load_dwordx2 s[16:17], s[0:1], 0x20                      // 000000001018: C0060400 00000020
	s_load_dwordx2 s[20:21], s[0:1], 0x30                      // 000000001020: C0060500 00000030
	s_load_dwordx2 s[28:29], s[0:1], 0x40                      // 000000001028: C0060700 00000040
	s_load_dwordx2 s[24:25], s[0:1], 0x50                      // 000000001030: C0060600 00000050
	s_load_dwordx2 s[30:31], s[0:1], 0x60                      // 000000001038: C0060780 00000060
	s_load_dword s64, s[0:1], 0x70                             // 000000001040: C0021000 00000070
	s_load_dword s65, s[0:1], 0x80                             // 000000001048: C0021040 00000080
	s_load_dword s67, s[0:1], 0x90                             // 000000001050: C00210C0 00000090
	s_load_dword s66, s[0:1], 0xa0                             // 000000001058: C0021080 000000A0
	s_load_dword s68, s[0:1], 0xb0                             // 000000001060: C0021100 000000B0
	s_load_dword s69, s[0:1], 0xc0                             // 000000001068: C0021140 000000C0
	s_load_dwordx2 s[32:33], s[0:1], 0xd0                      // 000000001070: C0060800 000000D0
	v_lshrrev_b32_e32 v1, 10, v0                               // 000000001078: 2002008A
	v_lshrrev_b32_e32 v2, 10, v1                               // 00000000107C: 2004028A
	v_and_b32_e32 v2, 0x3ff, v2                                // 000000001080: 260404FF 000003FF
	v_and_b32_e32 v1, 0x3ff, v1                                // 000000001088: 260202FF 000003FF
	v_and_b32_e32 v0, 0x3ff, v0                                // 000000001090: 260000FF 000003FF
	v_lshrrev_b32_e32 v3, 6, v0                                // 000000001098: 20060086
	v_and_b32_e32 v0, 63, v0                                   // 00000000109C: 260000BF
	s_mov_b32 s2, s2                                           // 0000000010A0: BE820002
	s_mov_b32 s3, s3                                           // 0000000010A4: BE830003
	s_mov_b32 s4, s4                                           // 0000000010A8: BE840004
	v_readfirstlane_b32 s7, v3                                 // 0000000010AC: 7E0E0503
	s_waitcnt lgkmcnt(0)                                       // 0000000010B0: BF8CC07F
	s_mov_b32 s65, 0x80                                        // 0000000010B4: BEC100FF 00000080
	s_mul_i32 s56, s3, 4                                       // 0000000010BC: 92388403
	s_and_b32 s29, s29, 0xffff                                 // 0000000010C0: 861DFF1D 0000FFFF
	s_and_b32 s31, s31, 0xffff                                 // 0000000010C8: 861FFF1F 0000FFFF
	s_add_u32 s28, s56, s28                                    // 0000000010D0: 801C1C38
	s_addc_u32 s29, 0, s29                                     // 0000000010D4: 821D1D80
	s_load_dword s47, s[28:29], 0x0                            // 0000000010D8: C0020BCE 00000000
	s_load_dword s46, s[28:29], 0x4                            // 0000000010E0: C0020B8E 00000004
	s_mul_i32 s56, s3, 4                                       // 0000000010E8: 92388403
	s_and_b32 s33, s33, 0xffff                                 // 0000000010EC: 8621FF21 0000FFFF
	s_add_u32 s32, s56, s32                                    // 0000000010F4: 80202038
	s_addc_u32 s33, 0, s33                                     // 0000000010F8: 82212180
	s_load_dword s79, s[32:33], 0x0                            // 0000000010FC: C00213D0 00000000
	s_load_dword s78, s[32:33], 0x4                            // 000000001104: C0021390 00000004
	s_mul_i32 s75, 0x800, s65                                  // 00000000110C: 924B41FF 00000800
	s_mul_i32 s74, 0x480, s65                                  // 000000001114: 924A41FF 00000480
	s_mul_i32 s56, 4, s65                                      // 00000000111C: 92384184
	s_mov_b32 s10, s75                                         // 000000001120: BE8A004B
	s_mov_b32 s18, -16                                         // 000000001124: BE9200D0
	s_mov_b32 s14, s56                                         // 000000001128: BE8E0038
	s_mov_b32 s22, -16                                         // 00000000112C: BE9600D0
	s_mov_b32 s26, -16                                         // 000000001130: BE9A00D0
	s_mov_b32 s11, 0x20000                                     // 000000001134: BE8B00FF 00020000
	s_mov_b32 s19, 0x20000                                     // 00000000113C: BE9300FF 00020000
	s_mov_b32 s15, 0x20000                                     // 000000001144: BE8F00FF 00020000
	s_mov_b32 s23, 0x20000                                     // 00000000114C: BE9700FF 00020000
	s_mov_b32 s27, 0x20000                                     // 000000001154: BE9B00FF 00020000
	s_and_b32 s9, s9, 0xffff                                   // 00000000115C: 8609FF09 0000FFFF
	s_and_b32 s17, s17, 0xffff                                 // 000000001164: 8611FF11 0000FFFF
	s_and_b32 s13, s13, 0xffff                                 // 00000000116C: 860DFF0D 0000FFFF
	s_and_b32 s21, s21, 0xffff                                 // 000000001174: 8615FF15 0000FFFF
	s_and_b32 s25, s25, 0xffff                                 // 00000000117C: 8619FF19 0000FFFF
	s_or_b32 s9, s9, 0x40000                                   // 000000001184: 8709FF09 00040000
	s_or_b32 s17, s17, 0x40000                                 // 00000000118C: 8711FF11 00040000
	s_or_b32 s13, s13, 0x40000                                 // 000000001194: 870DFF0D 00040000
	s_or_b32 s21, s21, 0x40000                                 // 00000000119C: 8715FF15 00040000
	s_or_b32 s25, s25, 0x40000                                 // 0000000011A4: 8719FF19 00040000
	s_waitcnt lgkmcnt(0)                                       // 0000000011AC: BF8CC07F
	s_mul_i32 s80, s2, 1                                       // 0000000011B0: 92508102
	s_sub_u32 s81, s78, s79                                    // 0000000011B4: 80D14F4E
	s_cmp_le_u32 s81, s80                                      // 0000000011B8: BF0B5051
	s_cbranch_scc1 label_3059                                  // 0000000011BC: BF852FE9
	s_mov_b32 s69, 0                                           // 0000000011C0: BEC50080
	s_lshr_b32 s44, 16, s69                                    // 0000000011C4: 8F2C4590
	s_mul_i32 s73, s44, 4                                      // 0000000011C8: 9249842C
	s_mul_i32 s73, s73, s67                                    // 0000000011CC: 92494349
	s_mul_i32 s45, s4, s44                                     // 0000000011D0: 922D2C04
	s_sub_u32 s50, s46, s47                                    // 0000000011D4: 80B22F2E
	s_lshl_b32 s56, s50, s69                                   // 0000000011D8: 8E384532
	s_sub_u32 s82, s56, s81                                    // 0000000011DC: 80D25138
	s_mul_i32 s58, s2, 1                                       // 0000000011E0: 923A8102
	s_add_u32 s82, s82, s58                                    // 0000000011E4: 80523A52
	s_add_u32 s57, s82, 1                                      // 0000000011E8: 80398152
	s_min_u32 s56, s56, s57                                    // 0000000011EC: 83B83938
	s_lshr_b32 s50, s56, s69                                   // 0000000011F0: 8F324538
	s_lshl_b32 s56, s45, s69                                   // 0000000011F4: 8E38452D
	s_add_u32 s83, s56, 15                                     // 0000000011F8: 80538F38
	s_mul_i32 s84, s67, 16                                     // 0000000011FC: 92549043
	s_cmp_le_u32 s50, s45                                      // 000000001200: BF0B2D32
	s_cbranch_scc1 label_3059                                  // 000000001204: BF852FD7
	s_mul_i32 s56, s50, 4                                      // 000000001208: 92388432
	s_mov_b32 s26, s56                                         // 00000000120C: BE9A0038
	s_mul_i32 s56, s47, 4                                      // 000000001210: 9238842F
	s_add_u32 s24, s56, s24                                    // 000000001214: 80181838
	s_addc_u32 s25, 0, s25                                     // 000000001218: 82191980
	s_mov_b32 s70, 0                                           // 00000000121C: BEC60080
	s_sub_u32 s71, s50, s45                                    // 000000001220: 80C72D32
	s_mul_i32 s39, s67, s44                                    // 000000001224: 92272C43
	s_mov_b32 s38, s71                                         // 000000001228: BEA60047
	v_cvt_f32_u32_e32 v20, s39                                 // 00000000122C: 7E280C27
	s_sub_i32 s56, 0, s39                                      // 000000001230: 81B82780
	v_rcp_iflag_f32_e32 v20, v20                               // 000000001234: 7E284714
	s_nop 0                                                    // 000000001238: BF800000
	v_mul_f32_e32 v20, 0x4f7ffffe, v20                         // 00000000123C: 0A2828FF 4F7FFFFE
	v_cvt_u32_f32_e32 v20, v20                                 // 000000001244: 7E280F14
	v_mul_lo_u32 v21, s56, v20                                 // 000000001248: D2850015 00022838
	v_mul_hi_u32 v21, v20, v21                                 // 000000001250: D2860015 00022B14
	v_add_u32_e32 v20, v20, v21                                // 000000001258: 68282B14
	v_mul_hi_u32 v20, s38, v20                                 // 00000000125C: D2860014 00022826
	v_mul_lo_u32 v21, v20, s39                                 // 000000001264: D2850015 00004F14
	v_sub_u32_e32 v23, s38, v21                                // 00000000126C: 6A2E2A26
	v_add_u32_e32 v22, 1, v20                                  // 000000001270: 682C2881
	v_cmp_le_u32_e32 vcc, s39, v23                             // 000000001274: 7D962E27
	v_subrev_u32_e32 v21, s39, v23                             // 000000001278: 6C2A2E27
	s_nop 0                                                    // 00000000127C: BF800000
	v_cndmask_b32_e32 v20, v20, v22, vcc                       // 000000001280: 00282D14
	v_cndmask_b32_e32 v23, v23, v21, vcc                       // 000000001284: 002E2B17
	v_add_u32_e32 v21, 1, v20                                  // 000000001288: 682A2881
	v_cmp_le_u32_e32 vcc, s39, v23                             // 00000000128C: 7D962E27
	s_nop 1                                                    // 000000001290: BF800001
	v_cndmask_b32_e32 v23, v20, v21, vcc                       // 000000001294: 002E2B14
	s_nop 3                                                    // 000000001298: BF800003
	v_readfirstlane_b32 s40, v23                               // 00000000129C: 7E500517
	s_nop 3                                                    // 0000000012A0: BF800003
	s_mov_b32 s71, s40                                         // 0000000012A4: BEC70028
	s_mul_i32 s56, s71, s39                                    // 0000000012A8: 92382747
	s_sub_u32 s56, s38, s56                                    // 0000000012AC: 80B83826
	s_mov_b32 s57, 0                                           // 0000000012B0: BEB90080
	s_cmp_lt_u32 s56, s44                                      // 0000000012B4: BF0A2C38
	s_cselect_b32 s57, s57, 1                                  // 0000000012B8: 85398139
	s_add_u32 s71, s57, s71                                    // 0000000012BC: 80474739
	s_cmpk_eq_u32 s57, 0x1                                     // 0000000012C0: B4390001
	s_cselect_b32 s49, 0, s56                                  // 0000000012C4: 85313880
	s_mov_b32 s48, s49                                         // 0000000012C8: BEB00031
	v_lshrrev_b32_e32 v20, 3, v0                               // 0000000012CC: 20280083
	v_and_b32_e32 v21, 1, v20                                  // 0000000012D0: 262A2881
	v_lshlrev_b32_e32 v8, 3, v21                               // 0000000012D4: 24102A83
	v_and_b32_e32 v20, 4, v20                                  // 0000000012D8: 26282884
	v_add_u32_e32 v8, v8, v20                                  // 0000000012DC: 68102908
	v_add_u32_e64 v8, v8, s7                                   // 0000000012E0: D1340008 00000F08
	v_add_u32_e32 v8, s45, v8                                  // 0000000012E8: 6810102D
	v_lshlrev_b32_e32 v8, 2, v8                                // 0000000012EC: 24101082
	buffer_load_dword v10, v8, s[24:27], 0 offen               // 0000000012F0: E0501000 80060A08
	v_add_u32_e32 v8, s73, v8                                  // 0000000012F8: 68101049
	buffer_load_dword v11, v8, s[24:27], 0 offen               // 0000000012FC: E0501000 80060B08
	v_add_u32_e32 v8, s73, v8                                  // 000000001304: 68101049
	s_add_u32 s56, s80, s79                                    // 000000001308: 80384F50
	v_mov_b32_e32 v20, s56                                     // 00000000130C: 7E280238
	v_mul_lo_u32 v21, s74, v20                                 // 000000001310: D2850015 0002284A
	v_mul_hi_u32 v22, s74, v20                                 // 000000001318: D2860016 0002284A
	s_nop 2                                                    // 000000001320: BF800002
	v_readfirstlane_b32 s56, v21                               // 000000001324: 7E700515
	v_readfirstlane_b32 s57, v22                               // 000000001328: 7E720516
	s_nop 4                                                    // 00000000132C: BF800004
	s_add_u32 s16, s56, s16                                    // 000000001330: 80101038
	s_addc_u32 s17, s57, s17                                   // 000000001334: 82111139
	s_sub_u32 s56, s81, s80                                    // 000000001338: 80B85051
	s_mul_i32 s56, s56, s74                                    // 00000000133C: 92384A38
	s_mov_b32 s18, s56                                         // 000000001340: BE920038
	s_mul_i32 s56, s7, 0x480                                   // 000000001344: 9238FF07 00000480
	v_lshlrev_b32_e32 v30, 2, v0                               // 00000000134C: 243C0082
	v_add_u32_e32 v30, s56, v30                                // 000000001350: 683C3C38
	s_mul_i32 s56, s7, 0x1420                                  // 000000001354: 9238FF07 00001420
	s_add_u32 s34, 0, s56                                      // 00000000135C: 80223880
	s_add_u32 s35, 0x5080, s34                                 // 000000001360: 802322FF 00005080
	s_add_u32 s36, 0x5080, s35                                 // 000000001368: 802423FF 00005080
	v_lshrrev_b32_e32 v20, 4, v0                               // 000000001370: 20280084
	v_lshlrev_b32_e32 v21, 2, v20                              // 000000001374: 242A2882
	v_and_b32_e32 v20, 15, v0                                  // 000000001378: 2628008F
	v_lshrrev_b32_e32 v22, 2, v20                              // 00000000137C: 202C2882
	v_mul_i32_i24_e32 v22, 0x140, v22                          // 000000001380: 0C2C2CFF 00000140
	v_add_u32_e32 v21, v22, v21                                // 000000001388: 682A2B16
	v_and_b32_e32 v20, 3, v0                                   // 00000000138C: 26280083
	v_mul_i32_i24_e32 v22, 0x508, v20                          // 000000001390: 0C2C28FF 00000508
	v_add_u32_e32 v21, v22, v21                                // 000000001398: 682A2B16
	v_lshlrev_b32_e32 v29, 2, v21                              // 00000000139C: 243A2A82
	s_mov_b32 m0, s34                                          // 0000000013A0: BEFC0022
	v_add_u32_e32 v28, 0, v30                                  // 0000000013A4: 68383C80
	buffer_load_dword v28, s[16:19], 0 offen lds               // 0000000013A8: E0511000 8004001C
	buffer_load_dword v28, s[16:19], 0 offen offset:256 lds    // 0000000013B0: E0511100 8004001C
	buffer_load_dword v28, s[16:19], 0 offen offset:512 lds    // 0000000013B8: E0511200 8004001C
	buffer_load_dword v28, s[16:19], 0 offen offset:768 lds    // 0000000013C0: E0511300 8004001C
	buffer_load_dword v28, s[16:19], 0 offen offset:1024 lds   // 0000000013C8: E0511400 8004001C
	s_add_u32 m0, m0, 0x500                                    // 0000000013D0: 807CFF7C 00000500
	v_add_u32_e32 v28, 0x1200, v28                             // 0000000013D8: 683838FF 00001200
	buffer_load_dword v28, s[16:19], 0 offen lds               // 0000000013E0: E0511000 8004001C
	buffer_load_dword v28, s[16:19], 0 offen offset:256 lds    // 0000000013E8: E0511100 8004001C
	buffer_load_dword v28, s[16:19], 0 offen offset:512 lds    // 0000000013F0: E0511200 8004001C
	buffer_load_dword v28, s[16:19], 0 offen offset:768 lds    // 0000000013F8: E0511300 8004001C
	buffer_load_dword v28, s[16:19], 0 offen offset:1024 lds   // 000000001400: E0511400 8004001C
	s_add_u32 m0, m0, 0x500                                    // 000000001408: 807CFF7C 00000500
	v_add_u32_e32 v28, 0x1200, v28                             // 000000001410: 683838FF 00001200
	buffer_load_dword v28, s[16:19], 0 offen lds               // 000000001418: E0511000 8004001C
	buffer_load_dword v28, s[16:19], 0 offen offset:256 lds    // 000000001420: E0511100 8004001C
	buffer_load_dword v28, s[16:19], 0 offen offset:512 lds    // 000000001428: E0511200 8004001C
	buffer_load_dword v28, s[16:19], 0 offen offset:768 lds    // 000000001430: E0511300 8004001C
	buffer_load_dword v28, s[16:19], 0 offen offset:1024 lds   // 000000001438: E0511400 8004001C
	s_add_u32 m0, m0, 0x500                                    // 000000001440: 807CFF7C 00000500
	v_add_u32_e32 v28, 0x1200, v28                             // 000000001448: 683838FF 00001200
	buffer_load_dword v28, s[16:19], 0 offen lds               // 000000001450: E0511000 8004001C
	buffer_load_dword v28, s[16:19], 0 offen offset:256 lds    // 000000001458: E0511100 8004001C
	buffer_load_dword v28, s[16:19], 0 offen offset:512 lds    // 000000001460: E0511200 8004001C
	buffer_load_dword v28, s[16:19], 0 offen offset:768 lds    // 000000001468: E0511300 8004001C
	buffer_load_dword v28, s[16:19], 0 offen offset:1024 lds   // 000000001470: E0511400 8004001C
	s_add_u32 m0, m0, 0x500                                    // 000000001478: 807CFF7C 00000500
	v_add_u32_e32 v28, 0x1200, v28                             // 000000001480: 683838FF 00001200
	s_mov_b32 m0, s35                                          // 000000001488: BEFC0023
	v_add_u32_e32 v28, 0x4800, v30                             // 00000000148C: 68383CFF 00004800
	buffer_load_dword v28, s[16:19], 0 offen lds               // 000000001494: E0511000 8004001C
	buffer_load_dword v28, s[16:19], 0 offen offset:256 lds    // 00000000149C: E0511100 8004001C
	buffer_load_dword v28, s[16:19], 0 offen offset:512 lds    // 0000000014A4: E0511200 8004001C
	buffer_load_dword v28, s[16:19], 0 offen offset:768 lds    // 0000000014AC: E0511300 8004001C
	buffer_load_dword v28, s[16:19], 0 offen offset:1024 lds   // 0000000014B4: E0511400 8004001C
	s_add_u32 m0, m0, 0x500                                    // 0000000014BC: 807CFF7C 00000500
	v_add_u32_e32 v28, 0x1200, v28                             // 0000000014C4: 683838FF 00001200
	buffer_load_dword v28, s[16:19], 0 offen lds               // 0000000014CC: E0511000 8004001C
	buffer_load_dword v28, s[16:19], 0 offen offset:256 lds    // 0000000014D4: E0511100 8004001C
	buffer_load_dword v28, s[16:19], 0 offen offset:512 lds    // 0000000014DC: E0511200 8004001C
	buffer_load_dword v28, s[16:19], 0 offen offset:768 lds    // 0000000014E4: E0511300 8004001C
	buffer_load_dword v28, s[16:19], 0 offen offset:1024 lds   // 0000000014EC: E0511400 8004001C
	s_add_u32 m0, m0, 0x500                                    // 0000000014F4: 807CFF7C 00000500
	v_add_u32_e32 v28, 0x1200, v28                             // 0000000014FC: 683838FF 00001200
	buffer_load_dword v28, s[16:19], 0 offen lds               // 000000001504: E0511000 8004001C
	buffer_load_dword v28, s[16:19], 0 offen offset:256 lds    // 00000000150C: E0511100 8004001C
	buffer_load_dword v28, s[16:19], 0 offen offset:512 lds    // 000000001514: E0511200 8004001C
	buffer_load_dword v28, s[16:19], 0 offen offset:768 lds    // 00000000151C: E0511300 8004001C
	buffer_load_dword v28, s[16:19], 0 offen offset:1024 lds   // 000000001524: E0511400 8004001C
	s_add_u32 m0, m0, 0x500                                    // 00000000152C: 807CFF7C 00000500
	v_add_u32_e32 v28, 0x1200, v28                             // 000000001534: 683838FF 00001200
	buffer_load_dword v28, s[16:19], 0 offen lds               // 00000000153C: E0511000 8004001C
	buffer_load_dword v28, s[16:19], 0 offen offset:256 lds    // 000000001544: E0511100 8004001C
	buffer_load_dword v28, s[16:19], 0 offen offset:512 lds    // 00000000154C: E0511200 8004001C
	buffer_load_dword v28, s[16:19], 0 offen offset:768 lds    // 000000001554: E0511300 8004001C
	buffer_load_dword v28, s[16:19], 0 offen offset:1024 lds   // 00000000155C: E0511400 8004001C
	s_add_u32 m0, m0, 0x500                                    // 000000001564: 807CFF7C 00000500
	v_add_u32_e32 v28, 0x1200, v28                             // 00000000156C: 683838FF 00001200
	s_waitcnt vmcnt(20)                                        // 000000001574: BF8C4F74
	s_barrier                                                  // 000000001578: BF8A0000
	s_mov_b32 m0, s36                                          // 00000000157C: BEFC0024
	v_add_u32_e32 v28, 0x9000, v30                             // 000000001580: 68383CFF 00009000
	buffer_load_dword v28, s[16:19], 0 offen lds               // 000000001588: E0511000 8004001C
	buffer_load_dword v28, s[16:19], 0 offen offset:256 lds    // 000000001590: E0511100 8004001C
	buffer_load_dword v28, s[16:19], 0 offen offset:512 lds    // 000000001598: E0511200 8004001C
	buffer_load_dword v28, s[16:19], 0 offen offset:768 lds    // 0000000015A0: E0511300 8004001C
	buffer_load_dword v28, s[16:19], 0 offen offset:1024 lds   // 0000000015A8: E0511400 8004001C
	s_add_u32 m0, m0, 0x500                                    // 0000000015B0: 807CFF7C 00000500
	v_add_u32_e32 v28, 0x1200, v28                             // 0000000015B8: 683838FF 00001200
	buffer_load_dword v28, s[16:19], 0 offen lds               // 0000000015C0: E0511000 8004001C
	buffer_load_dword v28, s[16:19], 0 offen offset:256 lds    // 0000000015C8: E0511100 8004001C
	buffer_load_dword v28, s[16:19], 0 offen offset:512 lds    // 0000000015D0: E0511200 8004001C
	buffer_load_dword v28, s[16:19], 0 offen offset:768 lds    // 0000000015D8: E0511300 8004001C
	buffer_load_dword v28, s[16:19], 0 offen offset:1024 lds   // 0000000015E0: E0511400 8004001C
	s_add_u32 m0, m0, 0x500                                    // 0000000015E8: 807CFF7C 00000500
	v_add_u32_e32 v28, 0x1200, v28                             // 0000000015F0: 683838FF 00001200
	buffer_load_dword v28, s[16:19], 0 offen lds               // 0000000015F8: E0511000 8004001C
	buffer_load_dword v28, s[16:19], 0 offen offset:256 lds    // 000000001600: E0511100 8004001C
	buffer_load_dword v28, s[16:19], 0 offen offset:512 lds    // 000000001608: E0511200 8004001C
	buffer_load_dword v28, s[16:19], 0 offen offset:768 lds    // 000000001610: E0511300 8004001C
	buffer_load_dword v28, s[16:19], 0 offen offset:1024 lds   // 000000001618: E0511400 8004001C
	s_add_u32 m0, m0, 0x500                                    // 000000001620: 807CFF7C 00000500
	v_add_u32_e32 v28, 0x1200, v28                             // 000000001628: 683838FF 00001200
	buffer_load_dword v28, s[16:19], 0 offen lds               // 000000001630: E0511000 8004001C
	buffer_load_dword v28, s[16:19], 0 offen offset:256 lds    // 000000001638: E0511100 8004001C
	buffer_load_dword v28, s[16:19], 0 offen offset:512 lds    // 000000001640: E0511200 8004001C
	buffer_load_dword v28, s[16:19], 0 offen offset:768 lds    // 000000001648: E0511300 8004001C
	buffer_load_dword v28, s[16:19], 0 offen offset:1024 lds   // 000000001650: E0511400 8004001C
	s_add_u32 m0, m0, 0x500                                    // 000000001658: 807CFF7C 00000500
	v_add_u32_e32 v28, 0x1200, v28                             // 000000001660: 683838FF 00001200
	s_cmp_eq_i32 s7, 0                                         // 000000001668: BF008007
	s_cbranch_scc0 label_01C1                                  // 00000000166C: BF840025
	ds_read_b128 a[0:3], v29                                   // 000000001670: DBFE0000 0000001D
	ds_read_b128 a[4:7], v29 offset:64                         // 000000001678: DBFE0040 0400001D
	ds_read_b128 a[8:11], v29 offset:128                       // 000000001680: DBFE0080 0800001D
	ds_read_b128 a[12:15], v29 offset:192                      // 000000001688: DBFE00C0 0C00001D
	ds_read_b128 a[16:19], v29 offset:256                      // 000000001690: DBFE0100 1000001D
	ds_read_b128 a[20:23], v29 offset:320                      // 000000001698: DBFE0140 1400001D
	ds_read_b128 a[24:27], v29 offset:384                      // 0000000016A0: DBFE0180 1800001D
	ds_read_b128 a[28:31], v29 offset:448                      // 0000000016A8: DBFE01C0 1C00001D
	ds_read_b128 a[32:35], v29 offset:512                      // 0000000016B0: DBFE0200 2000001D
	ds_read_b128 a[36:39], v29 offset:576                      // 0000000016B8: DBFE0240 2400001D
	ds_read_b128 a[40:43], v29 offset:640                      // 0000000016C0: DBFE0280 2800001D
	ds_read_b128 a[44:47], v29 offset:704                      // 0000000016C8: DBFE02C0 2C00001D
	ds_read_b128 a[48:51], v29 offset:768                      // 0000000016D0: DBFE0300 3000001D
	ds_read_b128 a[52:55], v29 offset:832                      // 0000000016D8: DBFE0340 3400001D
	ds_read_b128 a[56:59], v29 offset:896                      // 0000000016E0: DBFE0380 3800001D
	ds_read_b128 a[60:63], v29 offset:960                      // 0000000016E8: DBFE03C0 3C00001D
	ds_read_b128 a[64:67], v29 offset:1024                     // 0000000016F0: DBFE0400 4000001D
	ds_read_b128 a[68:71], v29 offset:1088                     // 0000000016F8: DBFE0440 4400001D
	s_waitcnt lgkmcnt(0)                                       // 000000001700: BF8CC07F

0000000000001704 <label_01C1>:
	s_waitcnt vmcnt(20)                                        // 000000001704: BF8C4F74
	s_barrier                                                  // 000000001708: BF8A0000
	s_mov_b32 m0, s34                                          // 00000000170C: BEFC0022
	v_add_u32_e32 v28, 0xd800, v30                             // 000000001710: 68383CFF 0000D800
	buffer_load_dword v28, s[16:19], 0 offen lds               // 000000001718: E0511000 8004001C
	buffer_load_dword v28, s[16:19], 0 offen offset:256 lds    // 000000001720: E0511100 8004001C
	buffer_load_dword v28, s[16:19], 0 offen offset:512 lds    // 000000001728: E0511200 8004001C
	buffer_load_dword v28, s[16:19], 0 offen offset:768 lds    // 000000001730: E0511300 8004001C
	buffer_load_dword v28, s[16:19], 0 offen offset:1024 lds   // 000000001738: E0511400 8004001C
	s_add_u32 m0, m0, 0x500                                    // 000000001740: 807CFF7C 00000500
	v_add_u32_e32 v28, 0x1200, v28                             // 000000001748: 683838FF 00001200
	buffer_load_dword v28, s[16:19], 0 offen lds               // 000000001750: E0511000 8004001C
	buffer_load_dword v28, s[16:19], 0 offen offset:256 lds    // 000000001758: E0511100 8004001C
	buffer_load_dword v28, s[16:19], 0 offen offset:512 lds    // 000000001760: E0511200 8004001C
	buffer_load_dword v28, s[16:19], 0 offen offset:768 lds    // 000000001768: E0511300 8004001C
	buffer_load_dword v28, s[16:19], 0 offen offset:1024 lds   // 000000001770: E0511400 8004001C
	s_add_u32 m0, m0, 0x500                                    // 000000001778: 807CFF7C 00000500
	v_add_u32_e32 v28, 0x1200, v28                             // 000000001780: 683838FF 00001200
	buffer_load_dword v28, s[16:19], 0 offen lds               // 000000001788: E0511000 8004001C
	buffer_load_dword v28, s[16:19], 0 offen offset:256 lds    // 000000001790: E0511100 8004001C
	buffer_load_dword v28, s[16:19], 0 offen offset:512 lds    // 000000001798: E0511200 8004001C
	buffer_load_dword v28, s[16:19], 0 offen offset:768 lds    // 0000000017A0: E0511300 8004001C
	buffer_load_dword v28, s[16:19], 0 offen offset:1024 lds   // 0000000017A8: E0511400 8004001C
	s_add_u32 m0, m0, 0x500                                    // 0000000017B0: 807CFF7C 00000500
	v_add_u32_e32 v28, 0x1200, v28                             // 0000000017B8: 683838FF 00001200
	buffer_load_dword v28, s[16:19], 0 offen lds               // 0000000017C0: E0511000 8004001C
	buffer_load_dword v28, s[16:19], 0 offen offset:256 lds    // 0000000017C8: E0511100 8004001C
	buffer_load_dword v28, s[16:19], 0 offen offset:512 lds    // 0000000017D0: E0511200 8004001C
	buffer_load_dword v28, s[16:19], 0 offen offset:768 lds    // 0000000017D8: E0511300 8004001C
	buffer_load_dword v28, s[16:19], 0 offen offset:1024 lds   // 0000000017E0: E0511400 8004001C
	s_add_u32 m0, m0, 0x500                                    // 0000000017E8: 807CFF7C 00000500
	v_add_u32_e32 v28, 0x1200, v28                             // 0000000017F0: 683838FF 00001200
	s_cmp_eq_i32 s7, 1                                         // 0000000017F8: BF008107
	s_cbranch_scc0 label_0225                                  // 0000000017FC: BF840025
	ds_read_b128 a[0:3], v29 offset:20608                      // 000000001800: DBFE5080 0000001D
	ds_read_b128 a[4:7], v29 offset:20672                      // 000000001808: DBFE50C0 0400001D
	ds_read_b128 a[8:11], v29 offset:20736                     // 000000001810: DBFE5100 0800001D
	ds_read_b128 a[12:15], v29 offset:20800                    // 000000001818: DBFE5140 0C00001D
	ds_read_b128 a[16:19], v29 offset:20864                    // 000000001820: DBFE5180 1000001D
	ds_read_b128 a[20:23], v29 offset:20928                    // 000000001828: DBFE51C0 1400001D
	ds_read_b128 a[24:27], v29 offset:20992                    // 000000001830: DBFE5200 1800001D
	ds_read_b128 a[28:31], v29 offset:21056                    // 000000001838: DBFE5240 1C00001D
	ds_read_b128 a[32:35], v29 offset:21120                    // 000000001840: DBFE5280 2000001D
	ds_read_b128 a[36:39], v29 offset:21184                    // 000000001848: DBFE52C0 2400001D
	ds_read_b128 a[40:43], v29 offset:21248                    // 000000001850: DBFE5300 2800001D
	ds_read_b128 a[44:47], v29 offset:21312                    // 000000001858: DBFE5340 2C00001D
	ds_read_b128 a[48:51], v29 offset:21376                    // 000000001860: DBFE5380 3000001D
	ds_read_b128 a[52:55], v29 offset:21440                    // 000000001868: DBFE53C0 3400001D
	ds_read_b128 a[56:59], v29 offset:21504                    // 000000001870: DBFE5400 3800001D
	ds_read_b128 a[60:63], v29 offset:21568                    // 000000001878: DBFE5440 3C00001D
	ds_read_b128 a[64:67], v29 offset:21632                    // 000000001880: DBFE5480 4000001D
	ds_read_b128 a[68:71], v29 offset:21696                    // 000000001888: DBFE54C0 4400001D
	s_waitcnt lgkmcnt(0)                                       // 000000001890: BF8CC07F

0000000000001894 <label_0225>:
	s_waitcnt vmcnt(20)                                        // 000000001894: BF8C4F74
	s_barrier                                                  // 000000001898: BF8A0000
	s_mov_b32 m0, s35                                          // 00000000189C: BEFC0023
	v_add_u32_e32 v28, 0x12000, v30                            // 0000000018A0: 68383CFF 00012000
	buffer_load_dword v28, s[16:19], 0 offen lds               // 0000000018A8: E0511000 8004001C
	buffer_load_dword v28, s[16:19], 0 offen offset:256 lds    // 0000000018B0: E0511100 8004001C
	buffer_load_dword v28, s[16:19], 0 offen offset:512 lds    // 0000000018B8: E0511200 8004001C
	buffer_load_dword v28, s[16:19], 0 offen offset:768 lds    // 0000000018C0: E0511300 8004001C
	buffer_load_dword v28, s[16:19], 0 offen offset:1024 lds   // 0000000018C8: E0511400 8004001C
	s_add_u32 m0, m0, 0x500                                    // 0000000018D0: 807CFF7C 00000500
	v_add_u32_e32 v28, 0x1200, v28                             // 0000000018D8: 683838FF 00001200
	buffer_load_dword v28, s[16:19], 0 offen lds               // 0000000018E0: E0511000 8004001C
	buffer_load_dword v28, s[16:19], 0 offen offset:256 lds    // 0000000018E8: E0511100 8004001C
	buffer_load_dword v28, s[16:19], 0 offen offset:512 lds    // 0000000018F0: E0511200 8004001C
	buffer_load_dword v28, s[16:19], 0 offen offset:768 lds    // 0000000018F8: E0511300 8004001C
	buffer_load_dword v28, s[16:19], 0 offen offset:1024 lds   // 000000001900: E0511400 8004001C
	s_add_u32 m0, m0, 0x500                                    // 000000001908: 807CFF7C 00000500
	v_add_u32_e32 v28, 0x1200, v28                             // 000000001910: 683838FF 00001200
	buffer_load_dword v28, s[16:19], 0 offen lds               // 000000001918: E0511000 8004001C
	buffer_load_dword v28, s[16:19], 0 offen offset:256 lds    // 000000001920: E0511100 8004001C
	buffer_load_dword v28, s[16:19], 0 offen offset:512 lds    // 000000001928: E0511200 8004001C
	buffer_load_dword v28, s[16:19], 0 offen offset:768 lds    // 000000001930: E0511300 8004001C
	buffer_load_dword v28, s[16:19], 0 offen offset:1024 lds   // 000000001938: E0511400 8004001C
	s_add_u32 m0, m0, 0x500                                    // 000000001940: 807CFF7C 00000500
	v_add_u32_e32 v28, 0x1200, v28                             // 000000001948: 683838FF 00001200
	buffer_load_dword v28, s[16:19], 0 offen lds               // 000000001950: E0511000 8004001C
	buffer_load_dword v28, s[16:19], 0 offen offset:256 lds    // 000000001958: E0511100 8004001C
	buffer_load_dword v28, s[16:19], 0 offen offset:512 lds    // 000000001960: E0511200 8004001C
	buffer_load_dword v28, s[16:19], 0 offen offset:768 lds    // 000000001968: E0511300 8004001C
	buffer_load_dword v28, s[16:19], 0 offen offset:1024 lds   // 000000001970: E0511400 8004001C
	s_add_u32 m0, m0, 0x500                                    // 000000001978: 807CFF7C 00000500
	v_add_u32_e32 v28, 0x1200, v28                             // 000000001980: 683838FF 00001200
	s_cmp_eq_i32 s7, 2                                         // 000000001988: BF008207
	s_cbranch_scc0 label_0289                                  // 00000000198C: BF840025
	ds_read_b128 a[0:3], v29 offset:41216                      // 000000001990: DBFEA100 0000001D
	ds_read_b128 a[4:7], v29 offset:41280                      // 000000001998: DBFEA140 0400001D
	ds_read_b128 a[8:11], v29 offset:41344                     // 0000000019A0: DBFEA180 0800001D
	ds_read_b128 a[12:15], v29 offset:41408                    // 0000000019A8: DBFEA1C0 0C00001D
	ds_read_b128 a[16:19], v29 offset:41472                    // 0000000019B0: DBFEA200 1000001D
	ds_read_b128 a[20:23], v29 offset:41536                    // 0000000019B8: DBFEA240 1400001D
	ds_read_b128 a[24:27], v29 offset:41600                    // 0000000019C0: DBFEA280 1800001D
	ds_read_b128 a[28:31], v29 offset:41664                    // 0000000019C8: DBFEA2C0 1C00001D
	ds_read_b128 a[32:35], v29 offset:41728                    // 0000000019D0: DBFEA300 2000001D
	ds_read_b128 a[36:39], v29 offset:41792                    // 0000000019D8: DBFEA340 2400001D
	ds_read_b128 a[40:43], v29 offset:41856                    // 0000000019E0: DBFEA380 2800001D
	ds_read_b128 a[44:47], v29 offset:41920                    // 0000000019E8: DBFEA3C0 2C00001D
	ds_read_b128 a[48:51], v29 offset:41984                    // 0000000019F0: DBFEA400 3000001D
	ds_read_b128 a[52:55], v29 offset:42048                    // 0000000019F8: DBFEA440 3400001D
	ds_read_b128 a[56:59], v29 offset:42112                    // 000000001A00: DBFEA480 3800001D
	ds_read_b128 a[60:63], v29 offset:42176                    // 000000001A08: DBFEA4C0 3C00001D
	ds_read_b128 a[64:67], v29 offset:42240                    // 000000001A10: DBFEA500 4000001D
	ds_read_b128 a[68:71], v29 offset:42304                    // 000000001A18: DBFEA540 4400001D
	s_waitcnt lgkmcnt(0)                                       // 000000001A20: BF8CC07F

0000000000001a24 <label_0289>:
	s_waitcnt vmcnt(20)                                        // 000000001A24: BF8C4F74
	s_barrier                                                  // 000000001A28: BF8A0000
	s_mov_b32 m0, s36                                          // 000000001A2C: BEFC0024
	v_add_u32_e32 v28, 0x16800, v30                            // 000000001A30: 68383CFF 00016800
	buffer_load_dword v28, s[16:19], 0 offen lds               // 000000001A38: E0511000 8004001C
	buffer_load_dword v28, s[16:19], 0 offen offset:256 lds    // 000000001A40: E0511100 8004001C
	buffer_load_dword v28, s[16:19], 0 offen offset:512 lds    // 000000001A48: E0511200 8004001C
	buffer_load_dword v28, s[16:19], 0 offen offset:768 lds    // 000000001A50: E0511300 8004001C
	buffer_load_dword v28, s[16:19], 0 offen offset:1024 lds   // 000000001A58: E0511400 8004001C
	s_add_u32 m0, m0, 0x500                                    // 000000001A60: 807CFF7C 00000500
	v_add_u32_e32 v28, 0x1200, v28                             // 000000001A68: 683838FF 00001200
	buffer_load_dword v28, s[16:19], 0 offen lds               // 000000001A70: E0511000 8004001C
	buffer_load_dword v28, s[16:19], 0 offen offset:256 lds    // 000000001A78: E0511100 8004001C
	buffer_load_dword v28, s[16:19], 0 offen offset:512 lds    // 000000001A80: E0511200 8004001C
	buffer_load_dword v28, s[16:19], 0 offen offset:768 lds    // 000000001A88: E0511300 8004001C
	buffer_load_dword v28, s[16:19], 0 offen offset:1024 lds   // 000000001A90: E0511400 8004001C
	s_add_u32 m0, m0, 0x500                                    // 000000001A98: 807CFF7C 00000500
	v_add_u32_e32 v28, 0x1200, v28                             // 000000001AA0: 683838FF 00001200
	buffer_load_dword v28, s[16:19], 0 offen lds               // 000000001AA8: E0511000 8004001C
	buffer_load_dword v28, s[16:19], 0 offen offset:256 lds    // 000000001AB0: E0511100 8004001C
	buffer_load_dword v28, s[16:19], 0 offen offset:512 lds    // 000000001AB8: E0511200 8004001C
	buffer_load_dword v28, s[16:19], 0 offen offset:768 lds    // 000000001AC0: E0511300 8004001C
	buffer_load_dword v28, s[16:19], 0 offen offset:1024 lds   // 000000001AC8: E0511400 8004001C
	s_add_u32 m0, m0, 0x500                                    // 000000001AD0: 807CFF7C 00000500
	v_add_u32_e32 v28, 0x1200, v28                             // 000000001AD8: 683838FF 00001200
	buffer_load_dword v28, s[16:19], 0 offen lds               // 000000001AE0: E0511000 8004001C
	buffer_load_dword v28, s[16:19], 0 offen offset:256 lds    // 000000001AE8: E0511100 8004001C
	buffer_load_dword v28, s[16:19], 0 offen offset:512 lds    // 000000001AF0: E0511200 8004001C
	buffer_load_dword v28, s[16:19], 0 offen offset:768 lds    // 000000001AF8: E0511300 8004001C
	buffer_load_dword v28, s[16:19], 0 offen offset:1024 lds   // 000000001B00: E0511400 8004001C
	s_add_u32 m0, m0, 0x500                                    // 000000001B08: 807CFF7C 00000500
	v_add_u32_e32 v28, 0x1200, v28                             // 000000001B10: 683838FF 00001200
	s_cmp_eq_i32 s7, 3                                         // 000000001B18: BF008307
	s_cbranch_scc0 label_02ED                                  // 000000001B1C: BF840025
	ds_read_b128 a[0:3], v29                                   // 000000001B20: DBFE0000 0000001D
	ds_read_b128 a[4:7], v29 offset:64                         // 000000001B28: DBFE0040 0400001D
	ds_read_b128 a[8:11], v29 offset:128                       // 000000001B30: DBFE0080 0800001D
	ds_read_b128 a[12:15], v29 offset:192                      // 000000001B38: DBFE00C0 0C00001D
	ds_read_b128 a[16:19], v29 offset:256                      // 000000001B40: DBFE0100 1000001D
	ds_read_b128 a[20:23], v29 offset:320                      // 000000001B48: DBFE0140 1400001D
	ds_read_b128 a[24:27], v29 offset:384                      // 000000001B50: DBFE0180 1800001D
	ds_read_b128 a[28:31], v29 offset:448                      // 000000001B58: DBFE01C0 1C00001D
	ds_read_b128 a[32:35], v29 offset:512                      // 000000001B60: DBFE0200 2000001D
	ds_read_b128 a[36:39], v29 offset:576                      // 000000001B68: DBFE0240 2400001D
	ds_read_b128 a[40:43], v29 offset:640                      // 000000001B70: DBFE0280 2800001D
	ds_read_b128 a[44:47], v29 offset:704                      // 000000001B78: DBFE02C0 2C00001D
	ds_read_b128 a[48:51], v29 offset:768                      // 000000001B80: DBFE0300 3000001D
	ds_read_b128 a[52:55], v29 offset:832                      // 000000001B88: DBFE0340 3400001D
	ds_read_b128 a[56:59], v29 offset:896                      // 000000001B90: DBFE0380 3800001D
	ds_read_b128 a[60:63], v29 offset:960                      // 000000001B98: DBFE03C0 3C00001D
	ds_read_b128 a[64:67], v29 offset:1024                     // 000000001BA0: DBFE0400 4000001D
	ds_read_b128 a[68:71], v29 offset:1088                     // 000000001BA8: DBFE0440 4400001D
	s_waitcnt lgkmcnt(0)                                       // 000000001BB0: BF8CC07F

0000000000001bb4 <label_02ED>:
	s_waitcnt vmcnt(20)                                        // 000000001BB4: BF8C4F74
	s_barrier                                                  // 000000001BB8: BF8A0000
	s_mov_b32 m0, s34                                          // 000000001BBC: BEFC0022
	v_add_u32_e32 v28, 0x1b000, v30                            // 000000001BC0: 68383CFF 0001B000
	buffer_load_dword v28, s[16:19], 0 offen lds               // 000000001BC8: E0511000 8004001C
	buffer_load_dword v28, s[16:19], 0 offen offset:256 lds    // 000000001BD0: E0511100 8004001C
	buffer_load_dword v28, s[16:19], 0 offen offset:512 lds    // 000000001BD8: E0511200 8004001C
	buffer_load_dword v28, s[16:19], 0 offen offset:768 lds    // 000000001BE0: E0511300 8004001C
	buffer_load_dword v28, s[16:19], 0 offen offset:1024 lds   // 000000001BE8: E0511400 8004001C
	s_add_u32 m0, m0, 0x500                                    // 000000001BF0: 807CFF7C 00000500
	v_add_u32_e32 v28, 0x1200, v28                             // 000000001BF8: 683838FF 00001200
	buffer_load_dword v28, s[16:19], 0 offen lds               // 000000001C00: E0511000 8004001C
	buffer_load_dword v28, s[16:19], 0 offen offset:256 lds    // 000000001C08: E0511100 8004001C
	buffer_load_dword v28, s[16:19], 0 offen offset:512 lds    // 000000001C10: E0511200 8004001C
	buffer_load_dword v28, s[16:19], 0 offen offset:768 lds    // 000000001C18: E0511300 8004001C
	buffer_load_dword v28, s[16:19], 0 offen offset:1024 lds   // 000000001C20: E0511400 8004001C
	s_add_u32 m0, m0, 0x500                                    // 000000001C28: 807CFF7C 00000500
	v_add_u32_e32 v28, 0x1200, v28                             // 000000001C30: 683838FF 00001200
	buffer_load_dword v28, s[16:19], 0 offen lds               // 000000001C38: E0511000 8004001C
	buffer_load_dword v28, s[16:19], 0 offen offset:256 lds    // 000000001C40: E0511100 8004001C
	buffer_load_dword v28, s[16:19], 0 offen offset:512 lds    // 000000001C48: E0511200 8004001C
	buffer_load_dword v28, s[16:19], 0 offen offset:768 lds    // 000000001C50: E0511300 8004001C
	buffer_load_dword v28, s[16:19], 0 offen offset:1024 lds   // 000000001C58: E0511400 8004001C
	s_add_u32 m0, m0, 0x500                                    // 000000001C60: 807CFF7C 00000500
	v_add_u32_e32 v28, 0x1200, v28                             // 000000001C68: 683838FF 00001200
	buffer_load_dword v28, s[16:19], 0 offen lds               // 000000001C70: E0511000 8004001C
	buffer_load_dword v28, s[16:19], 0 offen offset:256 lds    // 000000001C78: E0511100 8004001C
	buffer_load_dword v28, s[16:19], 0 offen offset:512 lds    // 000000001C80: E0511200 8004001C
	buffer_load_dword v28, s[16:19], 0 offen offset:768 lds    // 000000001C88: E0511300 8004001C
	buffer_load_dword v28, s[16:19], 0 offen offset:1024 lds   // 000000001C90: E0511400 8004001C
	s_add_u32 m0, m0, 0x500                                    // 000000001C98: 807CFF7C 00000500
	v_add_u32_e32 v28, 0x1200, v28                             // 000000001CA0: 683838FF 00001200
	s_cmp_eq_i32 s7, 0                                         // 000000001CA8: BF008007
	s_cbranch_scc0 label_0351                                  // 000000001CAC: BF840025
	ds_read_b128 a[72:75], v29 offset:20608                    // 000000001CB0: DBFE5080 4800001D
	ds_read_b128 a[76:79], v29 offset:20672                    // 000000001CB8: DBFE50C0 4C00001D
	ds_read_b128 a[80:83], v29 offset:20736                    // 000000001CC0: DBFE5100 5000001D
	ds_read_b128 a[84:87], v29 offset:20800                    // 000000001CC8: DBFE5140 5400001D
	ds_read_b128 a[88:91], v29 offset:20864                    // 000000001CD0: DBFE5180 5800001D
	ds_read_b128 a[92:95], v29 offset:20928                    // 000000001CD8: DBFE51C0 5C00001D
	ds_read_b128 a[96:99], v29 offset:20992                    // 000000001CE0: DBFE5200 6000001D
	ds_read_b128 a[100:103], v29 offset:21056                  // 000000001CE8: DBFE5240 6400001D
	ds_read_b128 a[104:107], v29 offset:21120                  // 000000001CF0: DBFE5280 6800001D
	ds_read_b128 a[108:111], v29 offset:21184                  // 000000001CF8: DBFE52C0 6C00001D
	ds_read_b128 a[112:115], v29 offset:21248                  // 000000001D00: DBFE5300 7000001D
	ds_read_b128 a[116:119], v29 offset:21312                  // 000000001D08: DBFE5340 7400001D
	ds_read_b128 a[120:123], v29 offset:21376                  // 000000001D10: DBFE5380 7800001D
	ds_read_b128 a[124:127], v29 offset:21440                  // 000000001D18: DBFE53C0 7C00001D
	ds_read_b128 a[128:131], v29 offset:21504                  // 000000001D20: DBFE5400 8000001D
	ds_read_b128 a[132:135], v29 offset:21568                  // 000000001D28: DBFE5440 8400001D
	ds_read_b128 a[136:139], v29 offset:21632                  // 000000001D30: DBFE5480 8800001D
	ds_read_b128 a[140:143], v29 offset:21696                  // 000000001D38: DBFE54C0 8C00001D
	s_waitcnt lgkmcnt(0)                                       // 000000001D40: BF8CC07F

0000000000001d44 <label_0351>:
	s_waitcnt vmcnt(20)                                        // 000000001D44: BF8C4F74
	s_barrier                                                  // 000000001D48: BF8A0000
	s_mov_b32 m0, s35                                          // 000000001D4C: BEFC0023
	v_add_u32_e32 v28, 0x1f800, v30                            // 000000001D50: 68383CFF 0001F800
	buffer_load_dword v28, s[16:19], 0 offen lds               // 000000001D58: E0511000 8004001C
	buffer_load_dword v28, s[16:19], 0 offen offset:256 lds    // 000000001D60: E0511100 8004001C
	buffer_load_dword v28, s[16:19], 0 offen offset:512 lds    // 000000001D68: E0511200 8004001C
	buffer_load_dword v28, s[16:19], 0 offen offset:768 lds    // 000000001D70: E0511300 8004001C
	buffer_load_dword v28, s[16:19], 0 offen offset:1024 lds   // 000000001D78: E0511400 8004001C
	s_add_u32 m0, m0, 0x500                                    // 000000001D80: 807CFF7C 00000500
	v_add_u32_e32 v28, 0x1200, v28                             // 000000001D88: 683838FF 00001200
	buffer_load_dword v28, s[16:19], 0 offen lds               // 000000001D90: E0511000 8004001C
	buffer_load_dword v28, s[16:19], 0 offen offset:256 lds    // 000000001D98: E0511100 8004001C
	buffer_load_dword v28, s[16:19], 0 offen offset:512 lds    // 000000001DA0: E0511200 8004001C
	buffer_load_dword v28, s[16:19], 0 offen offset:768 lds    // 000000001DA8: E0511300 8004001C
	buffer_load_dword v28, s[16:19], 0 offen offset:1024 lds   // 000000001DB0: E0511400 8004001C
	s_add_u32 m0, m0, 0x500                                    // 000000001DB8: 807CFF7C 00000500
	v_add_u32_e32 v28, 0x1200, v28                             // 000000001DC0: 683838FF 00001200
	buffer_load_dword v28, s[16:19], 0 offen lds               // 000000001DC8: E0511000 8004001C
	buffer_load_dword v28, s[16:19], 0 offen offset:256 lds    // 000000001DD0: E0511100 8004001C
	buffer_load_dword v28, s[16:19], 0 offen offset:512 lds    // 000000001DD8: E0511200 8004001C
	buffer_load_dword v28, s[16:19], 0 offen offset:768 lds    // 000000001DE0: E0511300 8004001C
	buffer_load_dword v28, s[16:19], 0 offen offset:1024 lds   // 000000001DE8: E0511400 8004001C
	s_add_u32 m0, m0, 0x500                                    // 000000001DF0: 807CFF7C 00000500
	v_add_u32_e32 v28, 0x1200, v28                             // 000000001DF8: 683838FF 00001200
	buffer_load_dword v28, s[16:19], 0 offen lds               // 000000001E00: E0511000 8004001C
	buffer_load_dword v28, s[16:19], 0 offen offset:256 lds    // 000000001E08: E0511100 8004001C
	buffer_load_dword v28, s[16:19], 0 offen offset:512 lds    // 000000001E10: E0511200 8004001C
	buffer_load_dword v28, s[16:19], 0 offen offset:768 lds    // 000000001E18: E0511300 8004001C
	buffer_load_dword v28, s[16:19], 0 offen offset:1024 lds   // 000000001E20: E0511400 8004001C
	s_add_u32 m0, m0, 0x500                                    // 000000001E28: 807CFF7C 00000500
	v_add_u32_e32 v28, 0x1200, v28                             // 000000001E30: 683838FF 00001200
	s_cmp_eq_i32 s7, 1                                         // 000000001E38: BF008107
	s_cbranch_scc0 label_03B5                                  // 000000001E3C: BF840025
	ds_read_b128 a[72:75], v29 offset:41216                    // 000000001E40: DBFEA100 4800001D
	ds_read_b128 a[76:79], v29 offset:41280                    // 000000001E48: DBFEA140 4C00001D
	ds_read_b128 a[80:83], v29 offset:41344                    // 000000001E50: DBFEA180 5000001D
	ds_read_b128 a[84:87], v29 offset:41408                    // 000000001E58: DBFEA1C0 5400001D
	ds_read_b128 a[88:91], v29 offset:41472                    // 000000001E60: DBFEA200 5800001D
	ds_read_b128 a[92:95], v29 offset:41536                    // 000000001E68: DBFEA240 5C00001D
	ds_read_b128 a[96:99], v29 offset:41600                    // 000000001E70: DBFEA280 6000001D
	ds_read_b128 a[100:103], v29 offset:41664                  // 000000001E78: DBFEA2C0 6400001D
	ds_read_b128 a[104:107], v29 offset:41728                  // 000000001E80: DBFEA300 6800001D
	ds_read_b128 a[108:111], v29 offset:41792                  // 000000001E88: DBFEA340 6C00001D
	ds_read_b128 a[112:115], v29 offset:41856                  // 000000001E90: DBFEA380 7000001D
	ds_read_b128 a[116:119], v29 offset:41920                  // 000000001E98: DBFEA3C0 7400001D
	ds_read_b128 a[120:123], v29 offset:41984                  // 000000001EA0: DBFEA400 7800001D
	ds_read_b128 a[124:127], v29 offset:42048                  // 000000001EA8: DBFEA440 7C00001D
	ds_read_b128 a[128:131], v29 offset:42112                  // 000000001EB0: DBFEA480 8000001D
	ds_read_b128 a[132:135], v29 offset:42176                  // 000000001EB8: DBFEA4C0 8400001D
	ds_read_b128 a[136:139], v29 offset:42240                  // 000000001EC0: DBFEA500 8800001D
	ds_read_b128 a[140:143], v29 offset:42304                  // 000000001EC8: DBFEA540 8C00001D
	s_waitcnt lgkmcnt(0)                                       // 000000001ED0: BF8CC07F

0000000000001ed4 <label_03B5>:
	s_waitcnt vmcnt(20)                                        // 000000001ED4: BF8C4F74
	s_barrier                                                  // 000000001ED8: BF8A0000
	s_cmp_eq_i32 s7, 2                                         // 000000001EDC: BF008207
	s_cbranch_scc0 label_03DE                                  // 000000001EE0: BF840025
	ds_read_b128 a[72:75], v29                                 // 000000001EE4: DBFE0000 4800001D
	ds_read_b128 a[76:79], v29 offset:64                       // 000000001EEC: DBFE0040 4C00001D
	ds_read_b128 a[80:83], v29 offset:128                      // 000000001EF4: DBFE0080 5000001D
	ds_read_b128 a[84:87], v29 offset:192                      // 000000001EFC: DBFE00C0 5400001D
	ds_read_b128 a[88:91], v29 offset:256                      // 000000001F04: DBFE0100 5800001D
	ds_read_b128 a[92:95], v29 offset:320                      // 000000001F0C: DBFE0140 5C00001D
	ds_read_b128 a[96:99], v29 offset:384                      // 000000001F14: DBFE0180 6000001D
	ds_read_b128 a[100:103], v29 offset:448                    // 000000001F1C: DBFE01C0 6400001D
	ds_read_b128 a[104:107], v29 offset:512                    // 000000001F24: DBFE0200 6800001D
	ds_read_b128 a[108:111], v29 offset:576                    // 000000001F2C: DBFE0240 6C00001D
	ds_read_b128 a[112:115], v29 offset:640                    // 000000001F34: DBFE0280 7000001D
	ds_read_b128 a[116:119], v29 offset:704                    // 000000001F3C: DBFE02C0 7400001D
	ds_read_b128 a[120:123], v29 offset:768                    // 000000001F44: DBFE0300 7800001D
	ds_read_b128 a[124:127], v29 offset:832                    // 000000001F4C: DBFE0340 7C00001D
	ds_read_b128 a[128:131], v29 offset:896                    // 000000001F54: DBFE0380 8000001D
	ds_read_b128 a[132:135], v29 offset:960                    // 000000001F5C: DBFE03C0 8400001D
	ds_read_b128 a[136:139], v29 offset:1024                   // 000000001F64: DBFE0400 8800001D
	ds_read_b128 a[140:143], v29 offset:1088                   // 000000001F6C: DBFE0440 8C00001D
	s_waitcnt lgkmcnt(0)                                       // 000000001F74: BF8CC07F

0000000000001f78 <label_03DE>:
	s_waitcnt vmcnt(0)                                         // 000000001F78: BF8C0F70
	s_barrier                                                  // 000000001F7C: BF8A0000
	s_cmp_eq_i32 s7, 3                                         // 000000001F80: BF008307
	s_cbranch_scc0 label_0407                                  // 000000001F84: BF840025
	ds_read_b128 a[72:75], v29 offset:20608                    // 000000001F88: DBFE5080 4800001D
	ds_read_b128 a[76:79], v29 offset:20672                    // 000000001F90: DBFE50C0 4C00001D
	ds_read_b128 a[80:83], v29 offset:20736                    // 000000001F98: DBFE5100 5000001D
	ds_read_b128 a[84:87], v29 offset:20800                    // 000000001FA0: DBFE5140 5400001D
	ds_read_b128 a[88:91], v29 offset:20864                    // 000000001FA8: DBFE5180 5800001D
	ds_read_b128 a[92:95], v29 offset:20928                    // 000000001FB0: DBFE51C0 5C00001D
	ds_read_b128 a[96:99], v29 offset:20992                    // 000000001FB8: DBFE5200 6000001D
	ds_read_b128 a[100:103], v29 offset:21056                  // 000000001FC0: DBFE5240 6400001D
	ds_read_b128 a[104:107], v29 offset:21120                  // 000000001FC8: DBFE5280 6800001D
	ds_read_b128 a[108:111], v29 offset:21184                  // 000000001FD0: DBFE52C0 6C00001D
	ds_read_b128 a[112:115], v29 offset:21248                  // 000000001FD8: DBFE5300 7000001D
	ds_read_b128 a[116:119], v29 offset:21312                  // 000000001FE0: DBFE5340 7400001D
	ds_read_b128 a[120:123], v29 offset:21376                  // 000000001FE8: DBFE5380 7800001D
	ds_read_b128 a[124:127], v29 offset:21440                  // 000000001FF0: DBFE53C0 7C00001D
	ds_read_b128 a[128:131], v29 offset:21504                  // 000000001FF8: DBFE5400 8000001D
	ds_read_b128 a[132:135], v29 offset:21568                  // 000000002000: DBFE5440 8400001D
	ds_read_b128 a[136:139], v29 offset:21632                  // 000000002008: DBFE5480 8800001D
	ds_read_b128 a[140:143], v29 offset:21696                  // 000000002010: DBFE54C0 8C00001D
	s_waitcnt lgkmcnt(0)                                       // 000000002018: BF8CC07F

000000000000201c <label_0407>:
	s_waitcnt vmcnt(0)                                         // 00000000201C: BF8C0F70
	s_barrier                                                  // 000000002020: BF8A0000
	s_mov_b32 s52, 0x7060302                                   // 000000002024: BEB400FF 07060302
	s_mov_b32 s53, 0x5040100                                   // 00000000202C: BEB500FF 05040100
	s_mov_b32 s6, 0x3fb8aa3b                                   // 000000002034: BE8600FF 3FB8AA3B
	v_mov_b32_e32 v21, s6                                      // 00000000203C: 7E2A0206
	v_mov_b32_e32 v20, s64                                     // 000000002040: 7E280240
	v_mul_f32_e32 v20, s6, v20                                 // 000000002044: 0A282806
	v_rcp_f32_e32 v21, v21                                     // 000000002048: 7E2A4515
	v_mov_b32_e32 v12, 0xff7fffff                              // 00000000204C: 7E1802FF FF7FFFFF
	v_mov_b32_e32 v13, 0xff7fffff                              // 000000002054: 7E1A02FF FF7FFFFF
	v_mov_b32_e32 v16, 0                                       // 00000000205C: 7E200280
	v_mov_b32_e32 v17, 0                                       // 000000002060: 7E220280
	v_mov_b32_e32 v14, 0                                       // 000000002064: 7E1C0280
	v_mov_b32_e32 v15, 0                                       // 000000002068: 7E1E0280
	v_mov_b32_e32 v9, s68                                      // 00000000206C: 7E120244
	v_readfirstlane_b32 s5, v20                                // 000000002070: 7E0A0514
	v_readfirstlane_b32 s63, v21                               // 000000002074: 7E7E0515
	v_and_b32_e32 v2, 15, v0                                   // 000000002078: 2604008F
	v_lshlrev_b32_e32 v2, 2, v2                                // 00000000207C: 24040482
	s_mul_i32 s56, 0x100, s7                                   // 000000002080: 923807FF 00000100
	v_add_u32_e32 v2, s56, v2                                  // 000000002088: 68040438
	v_lshlrev_b32_e32 v3, 2, v0                                // 00000000208C: 24060082
	s_mul_i32 s56, 0x100, s7                                   // 000000002090: 923807FF 00000100
	v_add_u32_e32 v3, s56, v3                                  // 000000002098: 68060638
	v_and_b32_e32 v20, 31, v0                                  // 00000000209C: 2628009F
	v_lshlrev_b32_e32 v1, 2, v20                               // 0000000020A0: 24022882
	s_mul_i32 s34, s7, 0x1220                                  // 0000000020A4: 9222FF07 00001220
	s_add_u32 s34, 0, s34                                      // 0000000020AC: 80222280
	s_add_u32 s35, 0x900, s34                                  // 0000000020B0: 802322FF 00000900
	s_add_u32 s36, 0x4880, s34                                 // 0000000020B8: 802422FF 00004880
	s_add_u32 s37, 0x4880, s35                                 // 0000000020C0: 802523FF 00004880
	s_waitcnt vmcnt(0)                                         // 0000000020C8: BF8C0F70
	v_mul_u32_u24_dpp v18, v10, v9 row_newbcast:0 row_mask:0xf bank_mask:0xf// 0000000020CC: 102412FA FF01500A
	v_mul_u32_u24_dpp v19, v10, v9 row_newbcast:8 row_mask:0xf bank_mask:0xf// 0000000020D4: 102612FA FF01580A
	v_add_u32_e32 v18, v18, v1                                 // 0000000020DC: 68240312
	v_add_u32_e32 v19, v19, v1                                 // 0000000020E0: 68260313
	s_mov_b32 m0, s34                                          // 0000000020E4: BEFC0022
	buffer_load_dword v18, s[20:23], 0 offen lds               // 0000000020E8: E0511000 80050012
	s_add_u32 m0, 0, s35                                       // 0000000020F0: 807C2380
	buffer_load_dword v19, s[20:23], 0 offen lds               // 0000000020F4: E0511000 80050013
	s_add_u32 m0, 0x80, s34                                    // 0000000020FC: 807C22FF 00000080
	buffer_load_dword v18, s[20:23], 0 offen offset:128 lds    // 000000002104: E0511080 80050012
	s_add_u32 m0, 0x80, s35                                    // 00000000210C: 807C23FF 00000080
	buffer_load_dword v19, s[20:23], 0 offen offset:128 lds    // 000000002114: E0511080 80050013
	s_add_u32 m0, 0x100, s34                                   // 00000000211C: 807C22FF 00000100
	buffer_load_dword v18, s[20:23], 0 offen offset:256 lds    // 000000002124: E0511100 80050012
	s_add_u32 m0, 0x100, s35                                   // 00000000212C: 807C23FF 00000100
	buffer_load_dword v19, s[20:23], 0 offen offset:256 lds    // 000000002134: E0511100 80050013
	s_add_u32 m0, 0x180, s34                                   // 00000000213C: 807C22FF 00000180
	buffer_load_dword v18, s[20:23], 0 offen offset:384 lds    // 000000002144: E0511180 80050012
	s_add_u32 m0, 0x180, s35                                   // 00000000214C: 807C23FF 00000180
	buffer_load_dword v19, s[20:23], 0 offen offset:384 lds    // 000000002154: E0511180 80050013
	s_add_u32 m0, 0x200, s34                                   // 00000000215C: 807C22FF 00000200
	buffer_load_dword v18, s[20:23], 0 offen offset:512 lds    // 000000002164: E0511200 80050012
	s_add_u32 m0, 0x200, s35                                   // 00000000216C: 807C23FF 00000200
	buffer_load_dword v19, s[20:23], 0 offen offset:512 lds    // 000000002174: E0511200 80050013
	s_add_u32 m0, 0x280, s34                                   // 00000000217C: 807C22FF 00000280
	buffer_load_dword v18, s[20:23], 0 offen offset:640 lds    // 000000002184: E0511280 80050012
	s_add_u32 m0, 0x280, s35                                   // 00000000218C: 807C23FF 00000280
	buffer_load_dword v19, s[20:23], 0 offen offset:640 lds    // 000000002194: E0511280 80050013
	s_add_u32 m0, 0x300, s34                                   // 00000000219C: 807C22FF 00000300
	buffer_load_dword v18, s[20:23], 0 offen offset:768 lds    // 0000000021A4: E0511300 80050012
	s_add_u32 m0, 0x300, s35                                   // 0000000021AC: 807C23FF 00000300
	buffer_load_dword v19, s[20:23], 0 offen offset:768 lds    // 0000000021B4: E0511300 80050013
	s_add_u32 m0, 0x380, s34                                   // 0000000021BC: 807C22FF 00000380
	buffer_load_dword v18, s[20:23], 0 offen offset:896 lds    // 0000000021C4: E0511380 80050012
	s_add_u32 m0, 0x380, s35                                   // 0000000021CC: 807C23FF 00000380
	buffer_load_dword v19, s[20:23], 0 offen offset:896 lds    // 0000000021D4: E0511380 80050013
	s_add_u32 m0, 0x400, s34                                   // 0000000021DC: 807C22FF 00000400
	buffer_load_dword v18, s[20:23], 0 offen offset:1024 lds   // 0000000021E4: E0511400 80050012
	s_add_u32 m0, 0x400, s35                                   // 0000000021EC: 807C23FF 00000400
	buffer_load_dword v19, s[20:23], 0 offen offset:1024 lds   // 0000000021F4: E0511400 80050013
	s_add_u32 m0, 0x480, s34                                   // 0000000021FC: 807C22FF 00000480
	buffer_load_dword v10, v8, s[24:27], 0 offen               // 000000002204: E0501000 80060A08
	v_add_u32_e32 v8, s73, v8                                  // 00000000220C: 68101049
	v_mov_b32_e32 v40, 0                                       // 000000002210: 7E500280
	v_mov_b32_e32 v41, 0                                       // 000000002214: 7E520280
	v_mov_b32_e32 v42, 0                                       // 000000002218: 7E540280
	v_mov_b32_e32 v43, 0                                       // 00000000221C: 7E560280
	v_mov_b32_e32 v44, 0                                       // 000000002220: 7E580280
	v_mov_b32_e32 v45, 0                                       // 000000002224: 7E5A0280
	v_mov_b32_e32 v46, 0                                       // 000000002228: 7E5C0280
	v_mov_b32_e32 v47, 0                                       // 00000000222C: 7E5E0280
	v_mov_b32_e32 v48, 0                                       // 000000002230: 7E600280
	v_mov_b32_e32 v49, 0                                       // 000000002234: 7E620280
	v_mov_b32_e32 v50, 0                                       // 000000002238: 7E640280
	v_mov_b32_e32 v51, 0                                       // 00000000223C: 7E660280
	v_mov_b32_e32 v52, 0                                       // 000000002240: 7E680280
	v_mov_b32_e32 v53, 0                                       // 000000002244: 7E6A0280
	v_mov_b32_e32 v54, 0                                       // 000000002248: 7E6C0280
	v_mov_b32_e32 v55, 0                                       // 00000000224C: 7E6E0280
	v_mov_b32_e32 v56, 0                                       // 000000002250: 7E700280
	v_mov_b32_e32 v57, 0                                       // 000000002254: 7E720280
	v_mov_b32_e32 v58, 0                                       // 000000002258: 7E740280
	v_mov_b32_e32 v59, 0                                       // 00000000225C: 7E760280
	v_mov_b32_e32 v60, 0                                       // 000000002260: 7E780280
	v_mov_b32_e32 v61, 0                                       // 000000002264: 7E7A0280
	v_mov_b32_e32 v62, 0                                       // 000000002268: 7E7C0280
	v_mov_b32_e32 v63, 0                                       // 00000000226C: 7E7E0280
	v_mov_b32_e32 v64, 0                                       // 000000002270: 7E800280
	v_mov_b32_e32 v65, 0                                       // 000000002274: 7E820280
	v_mov_b32_e32 v66, 0                                       // 000000002278: 7E840280
	v_mov_b32_e32 v67, 0                                       // 00000000227C: 7E860280
	v_mov_b32_e32 v68, 0                                       // 000000002280: 7E880280
	v_mov_b32_e32 v69, 0                                       // 000000002284: 7E8A0280
	v_mov_b32_e32 v70, 0                                       // 000000002288: 7E8C0280
	v_mov_b32_e32 v71, 0                                       // 00000000228C: 7E8E0280
	v_mov_b32_e32 v72, 0                                       // 000000002290: 7E900280
	v_mov_b32_e32 v73, 0                                       // 000000002294: 7E920280
	v_mov_b32_e32 v74, 0                                       // 000000002298: 7E940280
	v_mov_b32_e32 v75, 0                                       // 00000000229C: 7E960280
	v_mov_b32_e32 v76, 0                                       // 0000000022A0: 7E980280
	v_mov_b32_e32 v77, 0                                       // 0000000022A4: 7E9A0280
	v_mov_b32_e32 v78, 0                                       // 0000000022A8: 7E9C0280
	v_mov_b32_e32 v79, 0                                       // 0000000022AC: 7E9E0280
	v_mov_b32_e32 v80, 0                                       // 0000000022B0: 7EA00280
	v_mov_b32_e32 v81, 0                                       // 0000000022B4: 7EA20280
	v_mov_b32_e32 v82, 0                                       // 0000000022B8: 7EA40280
	v_mov_b32_e32 v83, 0                                       // 0000000022BC: 7EA60280
	v_mov_b32_e32 v84, 0                                       // 0000000022C0: 7EA80280
	v_mov_b32_e32 v85, 0                                       // 0000000022C4: 7EAA0280
	v_mov_b32_e32 v86, 0                                       // 0000000022C8: 7EAC0280
	v_mov_b32_e32 v87, 0                                       // 0000000022CC: 7EAE0280
	v_mov_b32_e32 v88, 0                                       // 0000000022D0: 7EB00280
	v_mov_b32_e32 v89, 0                                       // 0000000022D4: 7EB20280
	v_mov_b32_e32 v90, 0                                       // 0000000022D8: 7EB40280
	v_mov_b32_e32 v91, 0                                       // 0000000022DC: 7EB60280
	v_mov_b32_e32 v92, 0                                       // 0000000022E0: 7EB80280
	v_mov_b32_e32 v93, 0                                       // 0000000022E4: 7EBA0280
	v_mov_b32_e32 v94, 0                                       // 0000000022E8: 7EBC0280
	v_mov_b32_e32 v95, 0                                       // 0000000022EC: 7EBE0280
	v_mov_b32_e32 v96, 0                                       // 0000000022F0: 7EC00280
	v_mov_b32_e32 v97, 0                                       // 0000000022F4: 7EC20280
	v_mov_b32_e32 v98, 0                                       // 0000000022F8: 7EC40280
	v_mov_b32_e32 v99, 0                                       // 0000000022FC: 7EC60280
	v_mov_b32_e32 v100, 0                                      // 000000002300: 7EC80280
	v_mov_b32_e32 v101, 0                                      // 000000002304: 7ECA0280
	v_mov_b32_e32 v102, 0                                      // 000000002308: 7ECC0280
	v_mov_b32_e32 v103, 0                                      // 00000000230C: 7ECE0280
	v_mov_b32_e32 v104, 0                                      // 000000002310: 7ED00280
	v_mov_b32_e32 v105, 0                                      // 000000002314: 7ED20280
	v_mov_b32_e32 v106, 0                                      // 000000002318: 7ED40280
	v_mov_b32_e32 v107, 0                                      // 00000000231C: 7ED60280
	v_mov_b32_e32 v108, 0                                      // 000000002320: 7ED80280
	v_mov_b32_e32 v109, 0                                      // 000000002324: 7EDA0280
	v_mov_b32_e32 v110, 0                                      // 000000002328: 7EDC0280
	v_mov_b32_e32 v111, 0                                      // 00000000232C: 7EDE0280
	v_mov_b32_e32 v112, 0                                      // 000000002330: 7EE00280
	v_mov_b32_e32 v113, 0                                      // 000000002334: 7EE20280
	v_mov_b32_e32 v114, 0                                      // 000000002338: 7EE40280
	v_mov_b32_e32 v115, 0                                      // 00000000233C: 7EE60280
	v_mov_b32_e32 v116, 0                                      // 000000002340: 7EE80280
	v_mov_b32_e32 v117, 0                                      // 000000002344: 7EEA0280
	v_mov_b32_e32 v118, 0                                      // 000000002348: 7EEC0280
	v_mov_b32_e32 v119, 0                                      // 00000000234C: 7EEE0280
	v_mov_b32_e32 v120, 0                                      // 000000002350: 7EF00280
	v_mov_b32_e32 v121, 0                                      // 000000002354: 7EF20280
	v_mov_b32_e32 v122, 0                                      // 000000002358: 7EF40280
	v_mov_b32_e32 v123, 0                                      // 00000000235C: 7EF60280
	v_mov_b32_e32 v124, 0                                      // 000000002360: 7EF80280
	v_mov_b32_e32 v125, 0                                      // 000000002364: 7EFA0280
	v_mov_b32_e32 v126, 0                                      // 000000002368: 7EFC0280
	v_mov_b32_e32 v127, 0                                      // 00000000236C: 7EFE0280
	v_mov_b32_e32 v128, 0                                      // 000000002370: 7F000280
	v_mov_b32_e32 v129, 0                                      // 000000002374: 7F020280
	v_mov_b32_e32 v130, 0                                      // 000000002378: 7F040280
	v_mov_b32_e32 v131, 0                                      // 00000000237C: 7F060280
	v_mov_b32_e32 v132, 0                                      // 000000002380: 7F080280
	v_mov_b32_e32 v133, 0                                      // 000000002384: 7F0A0280
	v_mov_b32_e32 v134, 0                                      // 000000002388: 7F0C0280
	v_mov_b32_e32 v135, 0                                      // 00000000238C: 7F0E0280
	v_mov_b32_e32 v136, 0                                      // 000000002390: 7F100280
	v_mov_b32_e32 v137, 0                                      // 000000002394: 7F120280
	v_mov_b32_e32 v138, 0                                      // 000000002398: 7F140280
	v_mov_b32_e32 v139, 0                                      // 00000000239C: 7F160280
	v_mov_b32_e32 v140, 0                                      // 0000000023A0: 7F180280
	v_mov_b32_e32 v141, 0                                      // 0000000023A4: 7F1A0280
	v_mov_b32_e32 v142, 0                                      // 0000000023A8: 7F1C0280
	v_mov_b32_e32 v143, 0                                      // 0000000023AC: 7F1E0280
	v_mov_b32_e32 v144, 0                                      // 0000000023B0: 7F200280
	v_mov_b32_e32 v145, 0                                      // 0000000023B4: 7F220280
	v_mov_b32_e32 v146, 0                                      // 0000000023B8: 7F240280
	v_mov_b32_e32 v147, 0                                      // 0000000023BC: 7F260280
	v_mov_b32_e32 v148, 0                                      // 0000000023C0: 7F280280
	v_mov_b32_e32 v149, 0                                      // 0000000023C4: 7F2A0280
	v_mov_b32_e32 v150, 0                                      // 0000000023C8: 7F2C0280
	v_mov_b32_e32 v151, 0                                      // 0000000023CC: 7F2E0280
	v_mov_b32_e32 v152, 0                                      // 0000000023D0: 7F300280
	v_mov_b32_e32 v153, 0                                      // 0000000023D4: 7F320280
	v_mov_b32_e32 v154, 0                                      // 0000000023D8: 7F340280
	v_mov_b32_e32 v155, 0                                      // 0000000023DC: 7F360280
	v_mov_b32_e32 v156, 0                                      // 0000000023E0: 7F380280
	v_mov_b32_e32 v157, 0                                      // 0000000023E4: 7F3A0280
	v_mov_b32_e32 v158, 0                                      // 0000000023E8: 7F3C0280
	v_mov_b32_e32 v159, 0                                      // 0000000023EC: 7F3E0280
	v_mov_b32_e32 v160, 0                                      // 0000000023F0: 7F400280
	v_mov_b32_e32 v161, 0                                      // 0000000023F4: 7F420280
	v_mov_b32_e32 v162, 0                                      // 0000000023F8: 7F440280
	v_mov_b32_e32 v163, 0                                      // 0000000023FC: 7F460280
	v_mov_b32_e32 v164, 0                                      // 000000002400: 7F480280
	v_mov_b32_e32 v165, 0                                      // 000000002404: 7F4A0280
	v_mov_b32_e32 v166, 0                                      // 000000002408: 7F4C0280
	v_mov_b32_e32 v167, 0                                      // 00000000240C: 7F4E0280
	v_mov_b32_e32 v168, 0                                      // 000000002410: 7F500280
	v_mov_b32_e32 v169, 0                                      // 000000002414: 7F520280
	v_mov_b32_e32 v170, 0                                      // 000000002418: 7F540280
	v_mov_b32_e32 v171, 0                                      // 00000000241C: 7F560280
	v_mov_b32_e32 v172, 0                                      // 000000002420: 7F580280
	v_mov_b32_e32 v173, 0                                      // 000000002424: 7F5A0280
	v_mov_b32_e32 v174, 0                                      // 000000002428: 7F5C0280
	v_mov_b32_e32 v175, 0                                      // 00000000242C: 7F5E0280
	v_mov_b32_e32 v176, 0                                      // 000000002430: 7F600280
	v_mov_b32_e32 v177, 0                                      // 000000002434: 7F620280
	v_mov_b32_e32 v178, 0                                      // 000000002438: 7F640280
	v_mov_b32_e32 v179, 0                                      // 00000000243C: 7F660280
	v_mov_b32_e32 v180, 0                                      // 000000002440: 7F680280
	v_mov_b32_e32 v181, 0                                      // 000000002444: 7F6A0280
	v_mov_b32_e32 v182, 0                                      // 000000002448: 7F6C0280
	v_mov_b32_e32 v183, 0                                      // 00000000244C: 7F6E0280
	v_mov_b32_e32 v184, 0                                      // 000000002450: 7F700280
	v_mov_b32_e32 v185, 0                                      // 000000002454: 7F720280
	v_mov_b32_e32 v186, 0                                      // 000000002458: 7F740280
	v_mov_b32_e32 v187, 0                                      // 00000000245C: 7F760280
	v_mov_b32_e32 v188, 0                                      // 000000002460: 7F780280
	v_mov_b32_e32 v189, 0                                      // 000000002464: 7F7A0280
	v_mov_b32_e32 v190, 0                                      // 000000002468: 7F7C0280
	v_mov_b32_e32 v191, 0                                      // 00000000246C: 7F7E0280
	v_mov_b32_e32 v192, 0                                      // 000000002470: 7F800280
	v_mov_b32_e32 v193, 0                                      // 000000002474: 7F820280
	v_mov_b32_e32 v194, 0                                      // 000000002478: 7F840280
	v_mov_b32_e32 v195, 0                                      // 00000000247C: 7F860280
	v_mov_b32_e32 v196, 0                                      // 000000002480: 7F880280
	v_mov_b32_e32 v197, 0                                      // 000000002484: 7F8A0280
	v_mov_b32_e32 v198, 0                                      // 000000002488: 7F8C0280
	v_mov_b32_e32 v199, 0                                      // 00000000248C: 7F8E0280
	v_mov_b32_e32 v200, 0                                      // 000000002490: 7F900280
	v_mov_b32_e32 v201, 0                                      // 000000002494: 7F920280
	v_mov_b32_e32 v202, 0                                      // 000000002498: 7F940280
	v_mov_b32_e32 v203, 0                                      // 00000000249C: 7F960280
	v_mov_b32_e32 v204, 0                                      // 0000000024A0: 7F980280
	v_mov_b32_e32 v205, 0                                      // 0000000024A4: 7F9A0280
	v_mov_b32_e32 v206, 0                                      // 0000000024A8: 7F9C0280
	v_mov_b32_e32 v207, 0                                      // 0000000024AC: 7F9E0280
	v_mov_b32_e32 v208, 0                                      // 0000000024B0: 7FA00280
	v_mov_b32_e32 v209, 0                                      // 0000000024B4: 7FA20280
	v_mov_b32_e32 v210, 0                                      // 0000000024B8: 7FA40280
	v_mov_b32_e32 v211, 0                                      // 0000000024BC: 7FA60280
	v_mov_b32_e32 v212, 0                                      // 0000000024C0: 7FA80280
	v_mov_b32_e32 v213, 0                                      // 0000000024C4: 7FAA0280
	v_mov_b32_e32 v214, 0                                      // 0000000024C8: 7FAC0280
	v_mov_b32_e32 v215, 0                                      // 0000000024CC: 7FAE0280
	v_mov_b32_e32 v216, 0                                      // 0000000024D0: 7FB00280
	v_mov_b32_e32 v217, 0                                      // 0000000024D4: 7FB20280
	v_mov_b32_e32 v218, 0                                      // 0000000024D8: 7FB40280
	v_mov_b32_e32 v219, 0                                      // 0000000024DC: 7FB60280
	v_mov_b32_e32 v220, 0                                      // 0000000024E0: 7FB80280
	v_mov_b32_e32 v221, 0                                      // 0000000024E4: 7FBA0280
	v_mov_b32_e32 v222, 0                                      // 0000000024E8: 7FBC0280
	v_mov_b32_e32 v223, 0                                      // 0000000024EC: 7FBE0280
	v_mov_b32_e32 v224, 0                                      // 0000000024F0: 7FC00280
	v_mov_b32_e32 v225, 0                                      // 0000000024F4: 7FC20280
	v_mov_b32_e32 v226, 0                                      // 0000000024F8: 7FC40280
	v_mov_b32_e32 v227, 0                                      // 0000000024FC: 7FC60280
	v_mov_b32_e32 v228, 0                                      // 000000002500: 7FC80280
	v_mov_b32_e32 v229, 0                                      // 000000002504: 7FCA0280
	v_mov_b32_e32 v230, 0                                      // 000000002508: 7FCC0280
	v_mov_b32_e32 v231, 0                                      // 00000000250C: 7FCE0280
	v_mov_b32_e32 v232, 0                                      // 000000002510: 7FD00280
	v_mov_b32_e32 v233, 0                                      // 000000002514: 7FD20280
	v_mov_b32_e32 v234, 0                                      // 000000002518: 7FD40280
	v_mov_b32_e32 v235, 0                                      // 00000000251C: 7FD60280
	v_mov_b32_e32 v236, 0                                      // 000000002520: 7FD80280
	v_mov_b32_e32 v237, 0                                      // 000000002524: 7FDA0280
	v_mov_b32_e32 v238, 0                                      // 000000002528: 7FDC0280
	v_mov_b32_e32 v239, 0                                      // 00000000252C: 7FDE0280
	v_mov_b32_e32 v240, 0                                      // 000000002530: 7FE00280
	v_mov_b32_e32 v241, 0                                      // 000000002534: 7FE20280
	v_mov_b32_e32 v242, 0                                      // 000000002538: 7FE40280
	v_mov_b32_e32 v243, 0                                      // 00000000253C: 7FE60280
	v_mov_b32_e32 v244, 0                                      // 000000002540: 7FE80280
	v_mov_b32_e32 v245, 0                                      // 000000002544: 7FEA0280
	v_mov_b32_e32 v246, 0                                      // 000000002548: 7FEC0280
	v_mov_b32_e32 v247, 0                                      // 00000000254C: 7FEE0280
	v_mov_b32_e32 v248, 0                                      // 000000002550: 7FF00280
	v_mov_b32_e32 v249, 0                                      // 000000002554: 7FF20280
	v_mov_b32_e32 v250, 0                                      // 000000002558: 7FF40280
	v_mov_b32_e32 v251, 0                                      // 00000000255C: 7FF60280
	v_mov_b32_e32 v252, 0                                      // 000000002560: 7FF80280
	v_mov_b32_e32 v253, 0                                      // 000000002564: 7FFA0280
	v_mov_b32_e32 v254, 0                                      // 000000002568: 7FFC0280
	v_mov_b32_e32 v255, 0                                      // 00000000256C: 7FFE0280
	v_accvgpr_write_b32 a216, 0                                // 000000002570: D3D940D8 18000080
	v_accvgpr_write_b32 a217, 0                                // 000000002578: D3D940D9 18000080
	v_accvgpr_write_b32 a218, 0                                // 000000002580: D3D940DA 18000080
	v_accvgpr_write_b32 a219, 0                                // 000000002588: D3D940DB 18000080
	v_accvgpr_write_b32 a220, 0                                // 000000002590: D3D940DC 18000080
	v_accvgpr_write_b32 a221, 0                                // 000000002598: D3D940DD 18000080
	v_accvgpr_write_b32 a222, 0                                // 0000000025A0: D3D940DE 18000080
	v_accvgpr_write_b32 a223, 0                                // 0000000025A8: D3D940DF 18000080
	v_accvgpr_write_b32 a224, 0                                // 0000000025B0: D3D940E0 18000080
	v_accvgpr_write_b32 a225, 0                                // 0000000025B8: D3D940E1 18000080
	v_accvgpr_write_b32 a226, 0                                // 0000000025C0: D3D940E2 18000080
	v_accvgpr_write_b32 a227, 0                                // 0000000025C8: D3D940E3 18000080
	v_accvgpr_write_b32 a228, 0                                // 0000000025D0: D3D940E4 18000080
	v_accvgpr_write_b32 a229, 0                                // 0000000025D8: D3D940E5 18000080
	v_accvgpr_write_b32 a230, 0                                // 0000000025E0: D3D940E6 18000080
	v_accvgpr_write_b32 a231, 0                                // 0000000025E8: D3D940E7 18000080
	v_accvgpr_write_b32 a232, 0                                // 0000000025F0: D3D940E8 18000080
	v_accvgpr_write_b32 a233, 0                                // 0000000025F8: D3D940E9 18000080
	v_accvgpr_write_b32 a234, 0                                // 000000002600: D3D940EA 18000080
	v_accvgpr_write_b32 a235, 0                                // 000000002608: D3D940EB 18000080
	v_accvgpr_write_b32 a236, 0                                // 000000002610: D3D940EC 18000080
	v_accvgpr_write_b32 a237, 0                                // 000000002618: D3D940ED 18000080
	v_accvgpr_write_b32 a238, 0                                // 000000002620: D3D940EE 18000080
	v_accvgpr_write_b32 a239, 0                                // 000000002628: D3D940EF 18000080
	v_accvgpr_write_b32 a240, 0                                // 000000002630: D3D940F0 18000080
	v_accvgpr_write_b32 a241, 0                                // 000000002638: D3D940F1 18000080
	v_accvgpr_write_b32 a242, 0                                // 000000002640: D3D940F2 18000080
	v_accvgpr_write_b32 a243, 0                                // 000000002648: D3D940F3 18000080
	v_accvgpr_write_b32 a244, 0                                // 000000002650: D3D940F4 18000080
	v_accvgpr_write_b32 a245, 0                                // 000000002658: D3D940F5 18000080
	v_accvgpr_write_b32 a246, 0                                // 000000002660: D3D940F6 18000080
	v_accvgpr_write_b32 a247, 0                                // 000000002668: D3D940F7 18000080
	v_accvgpr_write_b32 a248, 0                                // 000000002670: D3D940F8 18000080
	v_accvgpr_write_b32 a249, 0                                // 000000002678: D3D940F9 18000080
	v_accvgpr_write_b32 a250, 0                                // 000000002680: D3D940FA 18000080
	v_accvgpr_write_b32 a251, 0                                // 000000002688: D3D940FB 18000080
	v_accvgpr_write_b32 a252, 0                                // 000000002690: D3D940FC 18000080
	v_accvgpr_write_b32 a253, 0                                // 000000002698: D3D940FD 18000080
	v_accvgpr_write_b32 a254, 0                                // 0000000026A0: D3D940FE 18000080
	v_accvgpr_write_b32 a255, 0                                // 0000000026A8: D3D940FF 18000080
	v_lshrrev_b32_e32 v20, 4, v0                               // 0000000026B0: 20280084
	v_mul_i32_i24_e32 v21, 4, v20                              // 0000000026B4: 0C2A2884
	v_and_b32_e32 v20, 15, v0                                  // 0000000026B8: 2628008F
	v_and_b32_e32 v22, 3, v20                                  // 0000000026BC: 262C2883
	v_mul_i32_i24_e32 v22, 0x488, v22                          // 0000000026C0: 0C2C2CFF 00000488
	v_add_u32_e32 v4, v22, v21                                 // 0000000026C8: 68082B16
	v_lshrrev_b32_e32 v20, 2, v20                              // 0000000026CC: 20282882
	v_and_b32_e32 v21, 1, v20                                  // 0000000026D0: 262A2881
	v_mul_i32_i24_e32 v21, 32, v21                             // 0000000026D4: 0C2A2AA0
	v_add_u32_e32 v4, v4, v21                                  // 0000000026D8: 68082B04
	v_and_b32_e32 v21, 2, v20                                  // 0000000026DC: 262A2882
	v_mul_i32_i24_e32 v21, 0x120, v21                          // 0000000026E0: 0C2A2AFF 00000120
	v_add_u32_e32 v4, v4, v21                                  // 0000000026E8: 68082B04
	v_lshlrev_b32_e32 v4, 2, v4                                // 0000000026EC: 24080882
	v_lshrrev_b32_e32 v20, 4, v0                               // 0000000026F0: 20280084
	v_and_b32_e32 v21, 1, v20                                  // 0000000026F4: 262A2881
	v_mul_i32_i24_e32 v5, 32, v21                              // 0000000026F8: 0C0A2AA0
	v_and_b32_e32 v21, 2, v20                                  // 0000000026FC: 262A2882
	v_mul_i32_i24_e32 v21, 0x120, v21                          // 000000002700: 0C2A2AFF 00000120
	v_add_u32_e32 v5, v5, v21                                  // 000000002708: 680A2B05
	v_and_b32_e32 v20, 15, v0                                  // 00000000270C: 2628008F
	v_mul_i32_i24_e32 v21, 2, v20                              // 000000002710: 0C2A2882
	v_add_u32_e32 v5, v5, v21                                  // 000000002714: 680A2B05
	s_mul_i32 s56, 64, s7                                      // 000000002718: 923807C0
	v_add_u32_e64 v5, v5, s56                                  // 00000000271C: D1340005 00007105
	v_lshlrev_b32_e32 v5, 2, v5                                // 000000002724: 240A0A82
	v_lshlrev_b32_e32 v6, 2, v0                                // 000000002728: 240C0082
	s_mul_i32 s56, 0x200, s7                                   // 00000000272C: 923807FF 00000200
	v_add_u32_e64 v6, v6, s56                                  // 000000002734: D1340006 00007106
	v_lshlrev_b32_e32 v6, 2, v6                                // 00000000273C: 240C0C82
	v_lshlrev_b32_e32 v7, 4, v0                                // 000000002740: 240E0084
	v_mul_u32_u24_dpp v18, v11, v9 row_newbcast:0 row_mask:0xf bank_mask:0xf// 000000002744: 102412FA FF01500B
	v_mul_u32_u24_dpp v19, v11, v9 row_newbcast:8 row_mask:0xf bank_mask:0xf// 00000000274C: 102612FA FF01580B
	v_add_u32_e32 v18, v18, v1                                 // 000000002754: 68240312
	v_add_u32_e32 v19, v19, v1                                 // 000000002758: 68260313
	s_mov_b32 m0, s36                                          // 00000000275C: BEFC0024
	buffer_load_dword v11, v8, s[24:27], 0 offen               // 000000002760: E0501000 80060B08
	v_add_u32_e32 v8, s73, v8                                  // 000000002768: 68101049
	buffer_load_dword v18, s[20:23], 0 offen lds               // 00000000276C: E0511000 80050012
	s_add_u32 m0, 0, s37                                       // 000000002774: 807C2580
	buffer_load_dword v19, s[20:23], 0 offen lds               // 000000002778: E0511000 80050013
	s_add_u32 m0, 0x80, s36                                    // 000000002780: 807C24FF 00000080
	buffer_load_dword v18, s[20:23], 0 offen offset:128 lds    // 000000002788: E0511080 80050012
	s_add_u32 m0, 0x80, s37                                    // 000000002790: 807C25FF 00000080
	buffer_load_dword v19, s[20:23], 0 offen offset:128 lds    // 000000002798: E0511080 80050013
	s_add_u32 m0, 0x100, s36                                   // 0000000027A0: 807C24FF 00000100
	buffer_load_dword v18, s[20:23], 0 offen offset:256 lds    // 0000000027A8: E0511100 80050012
	s_add_u32 m0, 0x100, s37                                   // 0000000027B0: 807C25FF 00000100
	buffer_load_dword v19, s[20:23], 0 offen offset:256 lds    // 0000000027B8: E0511100 80050013
	s_add_u32 m0, 0x180, s36                                   // 0000000027C0: 807C24FF 00000180
	buffer_load_dword v18, s[20:23], 0 offen offset:384 lds    // 0000000027C8: E0511180 80050012
	s_add_u32 m0, 0x180, s37                                   // 0000000027D0: 807C25FF 00000180
	buffer_load_dword v19, s[20:23], 0 offen offset:384 lds    // 0000000027D8: E0511180 80050013
	s_add_u32 m0, 0x200, s36                                   // 0000000027E0: 807C24FF 00000200
	buffer_load_dword v18, s[20:23], 0 offen offset:512 lds    // 0000000027E8: E0511200 80050012
	s_add_u32 m0, 0x200, s37                                   // 0000000027F0: 807C25FF 00000200
	buffer_load_dword v19, s[20:23], 0 offen offset:512 lds    // 0000000027F8: E0511200 80050013
	s_add_u32 m0, 0x280, s36                                   // 000000002800: 807C24FF 00000280
	buffer_load_dword v18, s[20:23], 0 offen offset:640 lds    // 000000002808: E0511280 80050012
	s_add_u32 m0, 0x280, s37                                   // 000000002810: 807C25FF 00000280
	buffer_load_dword v19, s[20:23], 0 offen offset:640 lds    // 000000002818: E0511280 80050013
	s_add_u32 m0, 0x300, s36                                   // 000000002820: 807C24FF 00000300
	buffer_load_dword v18, s[20:23], 0 offen offset:768 lds    // 000000002828: E0511300 80050012
	s_add_u32 m0, 0x300, s37                                   // 000000002830: 807C25FF 00000300
	buffer_load_dword v19, s[20:23], 0 offen offset:768 lds    // 000000002838: E0511300 80050013
	s_add_u32 m0, 0x380, s36                                   // 000000002840: 807C24FF 00000380
	buffer_load_dword v18, s[20:23], 0 offen offset:896 lds    // 000000002848: E0511380 80050012
	s_add_u32 m0, 0x380, s37                                   // 000000002850: 807C25FF 00000380
	buffer_load_dword v19, s[20:23], 0 offen offset:896 lds    // 000000002858: E0511380 80050013
	s_add_u32 m0, 0x400, s36                                   // 000000002860: 807C24FF 00000400
	buffer_load_dword v18, s[20:23], 0 offen offset:1024 lds   // 000000002868: E0511400 80050012
	s_add_u32 m0, 0x400, s37                                   // 000000002870: 807C25FF 00000400
	buffer_load_dword v19, s[20:23], 0 offen offset:1024 lds   // 000000002878: E0511400 80050013
	s_add_u32 m0, 0x480, s36                                   // 000000002880: 807C24FF 00000480
	s_waitcnt vmcnt(19) lgkmcnt(0)                             // 000000002888: BF8C4073
	s_barrier                                                  // 00000000288C: BF8A0000
	v_mul_u32_u24_dpp v18, v10, v9 row_newbcast:0 row_mask:0xf bank_mask:0xf// 000000002890: 102412FA FF01500A
	v_mul_u32_u24_dpp v19, v10, v9 row_newbcast:8 row_mask:0xf bank_mask:0xf// 000000002898: 102612FA FF01580A
	v_add_u32_e32 v18, v18, v1                                 // 0000000028A0: 68240312
	v_add_u32_e32 v19, v19, v1                                 // 0000000028A4: 68260313
	s_mov_b32 m0, s34                                          // 0000000028A8: BEFC0022
	ds_read_b128 a[144:147], v4                                // 0000000028AC: DBFE0000 90000004
	ds_read_b128 a[148:151], v4 offset:64                      // 0000000028B4: DBFE0040 94000004
	ds_read_b128 a[152:155], v4 offset:256                     // 0000000028BC: DBFE0100 98000004
	ds_read_b128 a[156:159], v4 offset:320                     // 0000000028C4: DBFE0140 9C000004
	ds_read_b128 a[160:163], v4 offset:512                     // 0000000028CC: DBFE0200 A0000004
	ds_read_b128 a[164:167], v4 offset:576                     // 0000000028D4: DBFE0240 A4000004
	ds_read_b128 a[168:171], v4 offset:768                     // 0000000028DC: DBFE0300 A8000004
	ds_read_b128 a[172:175], v4 offset:832                     // 0000000028E4: DBFE0340 AC000004
	ds_read_b128 a[176:179], v4 offset:1024                    // 0000000028EC: DBFE0400 B0000004
	ds_read_b128 a[180:183], v4 offset:1088                    // 0000000028F4: DBFE0440 B4000004
	ds_read_b128 a[184:187], v4 offset:1280                    // 0000000028FC: DBFE0500 B8000004
	ds_read_b128 a[188:191], v4 offset:1344                    // 000000002904: DBFE0540 BC000004
	ds_read_b128 a[192:195], v4 offset:1536                    // 00000000290C: DBFE0600 C0000004
	ds_read_b128 a[196:199], v4 offset:1600                    // 000000002914: DBFE0640 C4000004
	ds_read_b128 a[200:203], v4 offset:1792                    // 00000000291C: DBFE0700 C8000004
	ds_read_b128 a[204:207], v4 offset:1856                    // 000000002924: DBFE0740 CC000004
	ds_read_b128 a[208:211], v4 offset:2048                    // 00000000292C: DBFE0800 D0000004
	ds_read_b128 a[212:215], v4 offset:2112                    // 000000002934: DBFE0840 D4000004
	ds_read_b64 v[20:21], v5                                   // 00000000293C: D8EC0000 14000005
	ds_read_b64 v[22:23], v5 offset:4640                       // 000000002944: D8EC1220 16000005
	ds_read_b64 v[24:25], v5 offset:9280                       // 00000000294C: D8EC2440 18000005
	ds_read_b64 v[26:27], v5 offset:13920                      // 000000002954: D8EC3660 1A000005
	s_waitcnt lgkmcnt(0)                                       // 00000000295C: BF8CC07F
	v_perm_b32 v28, v22, v20, s53                              // 000000002960: D1ED001C 00D62916
	v_perm_b32 v30, v22, v20, s52                              // 000000002968: D1ED001E 00D22916
	v_perm_b32 v29, v26, v24, s53                              // 000000002970: D1ED001D 00D6311A
	v_perm_b32 v31, v26, v24, s52                              // 000000002978: D1ED001F 00D2311A
	ds_write_b128 v6, v[28:31] offset:37120                    // 000000002980: D9BE9100 00001C06
	v_perm_b32 v28, v23, v21, s53                              // 000000002988: D1ED001C 00D62B17
	v_perm_b32 v30, v23, v21, s52                              // 000000002990: D1ED001E 00D22B17
	v_perm_b32 v29, v27, v25, s53                              // 000000002998: D1ED001D 00D6331B
	v_perm_b32 v31, v27, v25, s52                              // 0000000029A0: D1ED001F 00D2331B
	ds_write_b128 v6, v[28:31] offset:38144                    // 0000000029A8: D9BE9500 00001C06
	ds_read_b64 v[20:21], v5 offset:1024                       // 0000000029B0: D8EC0400 14000005
	ds_read_b64 v[22:23], v5 offset:5664                       // 0000000029B8: D8EC1620 16000005
	ds_read_b64 v[24:25], v5 offset:10304                      // 0000000029C0: D8EC2840 18000005
	ds_read_b64 v[26:27], v5 offset:14944                      // 0000000029C8: D8EC3A60 1A000005
	s_waitcnt lgkmcnt(0)                                       // 0000000029D0: BF8CC07F
	v_perm_b32 v28, v22, v20, s53                              // 0000000029D4: D1ED001C 00D62916
	v_perm_b32 v30, v22, v20, s52                              // 0000000029DC: D1ED001E 00D22916
	v_perm_b32 v29, v26, v24, s53                              // 0000000029E4: D1ED001D 00D6311A
	v_perm_b32 v31, v26, v24, s52                              // 0000000029EC: D1ED001F 00D2311A
	ds_write_b128 v6, v[28:31] offset:45312                    // 0000000029F4: D9BEB100 00001C06
	v_perm_b32 v28, v23, v21, s53                              // 0000000029FC: D1ED001C 00D62B17
	v_perm_b32 v30, v23, v21, s52                              // 000000002A04: D1ED001E 00D22B17
	v_perm_b32 v29, v27, v25, s53                              // 000000002A0C: D1ED001D 00D6331B
	v_perm_b32 v31, v27, v25, s52                              // 000000002A14: D1ED001F 00D2331B
	ds_write_b128 v6, v[28:31] offset:46336                    // 000000002A1C: D9BEB500 00001C06
	s_cmp_lt_u32 s71, 1                                        // 000000002A24: BF0A8147
	s_cbranch_scc1 label_18AC                                  // 000000002A28: BF851221
	s_cmp_lt_i32 s7, 2                                         // 000000002A2C: BF048207
	s_cbranch_scc0 label_0F9D                                  // 000000002A30: BF840910

0000000000002a34 <label_068D>:
	s_waitcnt lgkmcnt(4)                                       // 000000002A34: BF8CC47F
	v_mfma_f32_16x16x16_bf16 v[32:35], a[144:145], a[0:1], 0   // 000000002A38: D3E10020 1A020190
	ds_read_b128 a[176:179], v4 offset:1024                    // 000000002A40: DBFE0400 B0000004
	ds_read_b128 a[180:183], v4 offset:1088                    // 000000002A48: DBFE0440 B4000004
	v_mfma_f32_16x16x16_bf16 v[32:35], a[146:147], a[2:3], v[32:35]// 000000002A50: D3E10020 1C820592
	buffer_load_dword v10, v8, s[24:27], 0 offen               // 000000002A58: E0501000 80060A08
	v_mfma_f32_16x16x16_bf16 v[32:35], a[148:149], a[4:5], v[32:35]// 000000002A60: D3E10020 1C820994
	v_mfma_f32_16x16x16_bf16 v[32:35], a[150:151], a[6:7], v[32:35]// 000000002A68: D3E10020 1C820D96
	v_mfma_f32_16x16x16_bf16 v[32:35], a[152:153], a[8:9], v[32:35]// 000000002A70: D3E10020 1C821198
	ds_read_b128 a[184:187], v4 offset:1280                    // 000000002A78: DBFE0500 B8000004
	ds_read_b128 a[188:191], v4 offset:1344                    // 000000002A80: DBFE0540 BC000004
	v_mfma_f32_16x16x16_bf16 v[32:35], a[154:155], a[10:11], v[32:35]// 000000002A88: D3E10020 1C82159A
	v_mfma_f32_16x16x16_bf16 v[32:35], a[156:157], a[12:13], v[32:35]// 000000002A90: D3E10020 1C82199C
	v_mfma_f32_16x16x16_bf16 v[32:35], a[158:159], a[14:15], v[32:35]// 000000002A98: D3E10020 1C821D9E
	s_waitcnt lgkmcnt(4)                                       // 000000002AA0: BF8CC47F
	v_mfma_f32_16x16x16_bf16 v[32:35], a[160:161], a[16:17], v[32:35]// 000000002AA4: D3E10020 1C8221A0
	ds_read_b128 a[192:195], v4 offset:1536                    // 000000002AAC: DBFE0600 C0000004
	ds_read_b128 a[196:199], v4 offset:1600                    // 000000002AB4: DBFE0640 C4000004
	v_mfma_f32_16x16x16_bf16 v[32:35], a[162:163], a[18:19], v[32:35]// 000000002ABC: D3E10020 1C8225A2
	v_mfma_f32_16x16x16_bf16 v[32:35], a[164:165], a[20:21], v[32:35]// 000000002AC4: D3E10020 1C8229A4
	v_mfma_f32_16x16x16_bf16 v[32:35], a[166:167], a[22:23], v[32:35]// 000000002ACC: D3E10020 1C822DA6
	v_mfma_f32_16x16x16_bf16 v[32:35], a[168:169], a[24:25], v[32:35]// 000000002AD4: D3E10020 1C8231A8
	ds_read_b128 a[200:203], v4 offset:1792                    // 000000002ADC: DBFE0700 C8000004
	ds_read_b128 a[204:207], v4 offset:1856                    // 000000002AE4: DBFE0740 CC000004
	v_mfma_f32_16x16x16_bf16 v[32:35], a[170:171], a[26:27], v[32:35]// 000000002AEC: D3E10020 1C8235AA
	v_mfma_f32_16x16x16_bf16 v[32:35], a[172:173], a[28:29], v[32:35]// 000000002AF4: D3E10020 1C8239AC
	v_mfma_f32_16x16x16_bf16 v[32:35], a[174:175], a[30:31], v[32:35]// 000000002AFC: D3E10020 1C823DAE
	s_waitcnt lgkmcnt(4)                                       // 000000002B04: BF8CC47F
	s_barrier                                                  // 000000002B08: BF8A0000
	v_mfma_f32_16x16x16_bf16 v[32:35], a[176:177], a[32:33], v[32:35]// 000000002B0C: D3E10020 1C8241B0
	ds_read_b128 a[208:211], v4 offset:2048                    // 000000002B14: DBFE0800 D0000004
	ds_read_b128 a[212:215], v4 offset:2112                    // 000000002B1C: DBFE0840 D4000004
	v_mfma_f32_16x16x16_bf16 v[32:35], a[178:179], a[34:35], v[32:35]// 000000002B24: D3E10020 1C8245B2
	v_mfma_f32_16x16x16_bf16 v[32:35], a[180:181], a[36:37], v[32:35]// 000000002B2C: D3E10020 1C8249B4
	v_perm_b32 v28, v22, v20, s53                              // 000000002B34: D1ED001C 00D62916
	v_perm_b32 v30, v22, v20, s52                              // 000000002B3C: D1ED001E 00D22916
	v_perm_b32 v29, v26, v24, s53                              // 000000002B44: D1ED001D 00D6311A
	v_perm_b32 v31, v26, v24, s52                              // 000000002B4C: D1ED001F 00D2311A
	v_mfma_f32_16x16x16_bf16 v[32:35], a[182:183], a[38:39], v[32:35]// 000000002B54: D3E10020 1C824DB6
	buffer_load_dword v18, s[20:23], 0 offen lds               // 000000002B5C: E0511000 80050012
	s_add_u32 m0, 0, s35                                       // 000000002B64: 807C2380
	v_mfma_f32_16x16x16_bf16 v[32:35], a[184:185], a[40:41], v[32:35]// 000000002B68: D3E10020 1C8251B8
	ds_write_b128 v6, v[28:31] offset:45312                    // 000000002B70: D9BEB100 00001C06
	v_mfma_f32_16x16x16_bf16 v[32:35], a[186:187], a[42:43], v[32:35]// 000000002B78: D3E10020 1C8255BA
	buffer_load_dword v19, s[20:23], 0 offen lds               // 000000002B80: E0511000 80050013
	s_add_u32 m0, 0x80, s34                                    // 000000002B88: 807C22FF 00000080
	v_mfma_f32_16x16x16_bf16 v[32:35], a[188:189], a[44:45], v[32:35]// 000000002B90: D3E10020 1C8259BC
	v_perm_b32 v28, v23, v21, s53                              // 000000002B98: D1ED001C 00D62B17
	v_perm_b32 v30, v23, v21, s52                              // 000000002BA0: D1ED001E 00D22B17
	v_perm_b32 v29, v27, v25, s53                              // 000000002BA8: D1ED001D 00D6331B
	v_perm_b32 v31, v27, v25, s52                              // 000000002BB0: D1ED001F 00D2331B
	v_mfma_f32_16x16x16_bf16 v[32:35], a[190:191], a[46:47], v[32:35]// 000000002BB8: D3E10020 1C825DBE
	buffer_load_dword v18, s[20:23], 0 offen offset:128 lds    // 000000002BC0: E0511080 80050012
	s_add_u32 m0, 0x80, s35                                    // 000000002BC8: 807C23FF 00000080
	s_waitcnt lgkmcnt(1)                                       // 000000002BD0: BF8CC17F
	v_mfma_f32_16x16x16_bf16 v[32:35], a[192:193], a[48:49], v[32:35]// 000000002BD4: D3E10020 1C8261C0
	ds_write_b128 v6, v[28:31] offset:46336                    // 000000002BDC: D9BEB500 00001C06
	v_mfma_f32_16x16x16_bf16 v[32:35], a[194:195], a[50:51], v[32:35]// 000000002BE4: D3E10020 1C8265C2
	buffer_load_dword v19, s[20:23], 0 offen offset:128 lds    // 000000002BEC: E0511080 80050013
	s_add_u32 m0, 0x100, s34                                   // 000000002BF4: 807C22FF 00000100
	v_mfma_f32_16x16x16_bf16 v[32:35], a[196:197], a[52:53], v[32:35]// 000000002BFC: D3E10020 1C8269C4
	v_mfma_f32_16x16x16_bf16 v[32:35], a[198:199], a[54:55], v[32:35]// 000000002C04: D3E10020 1C826DC6
	buffer_load_dword v18, s[20:23], 0 offen offset:256 lds    // 000000002C0C: E0511100 80050012
	s_add_u32 m0, 0x100, s35                                   // 000000002C14: 807C23FF 00000100
	v_mfma_f32_16x16x16_bf16 v[32:35], a[200:201], a[56:57], v[32:35]// 000000002C1C: D3E10020 1C8271C8
	v_mfma_f32_16x16x16_bf16 v[32:35], a[202:203], a[58:59], v[32:35]// 000000002C24: D3E10020 1C8275CA
	buffer_load_dword v19, s[20:23], 0 offen offset:256 lds    // 000000002C2C: E0511100 80050013
	s_add_u32 m0, 0x180, s34                                   // 000000002C34: 807C22FF 00000180
	v_mfma_f32_16x16x16_bf16 v[32:35], a[204:205], a[60:61], v[32:35]// 000000002C3C: D3E10020 1C8279CC
	v_mfma_f32_16x16x16_bf16 v[32:35], a[206:207], a[62:63], v[32:35]// 000000002C44: D3E10020 1C827DCE
	buffer_load_dword v18, s[20:23], 0 offen offset:384 lds    // 000000002C4C: E0511180 80050012
	s_add_u32 m0, 0x180, s35                                   // 000000002C54: 807C23FF 00000180
	v_mfma_f32_16x16x16_bf16 v[32:35], a[208:209], a[64:65], v[32:35]// 000000002C5C: D3E10020 1C8281D0
	v_mfma_f32_16x16x16_bf16 v[32:35], a[210:211], a[66:67], v[32:35]// 000000002C64: D3E10020 1C8285D2
	buffer_load_dword v19, s[20:23], 0 offen offset:384 lds    // 000000002C6C: E0511180 80050013
	s_add_u32 m0, 0x200, s34                                   // 000000002C74: 807C22FF 00000200
	v_mfma_f32_16x16x16_bf16 v[32:35], a[212:213], a[68:69], v[32:35]// 000000002C7C: D3E10020 1C8289D4
	v_mfma_f32_16x16x16_bf16 v[32:35], a[214:215], a[70:71], v[32:35]// 000000002C84: D3E10020 1C828DD6
	buffer_load_dword v18, s[20:23], 0 offen offset:512 lds    // 000000002C8C: E0511200 80050012
	s_add_u32 m0, 0x200, s35                                   // 000000002C94: 807C23FF 00000200
	v_add_u32_e32 v8, s73, v8                                  // 000000002C9C: 68101049
	s_cmp_le_i32 s83, s82                                      // 000000002CA0: BF055253
	s_cbranch_scc1 label_074C                                  // 000000002CA4: BF850022
	v_mov_b32_e32 v25, 0xff800000                              // 000000002CA8: 7E3202FF FF800000
	v_mov_b32_e32 v24, s82                                     // 000000002CB0: 7E300252
	s_sub_u32 s56, s83, 15                                     // 000000002CB4: 80B88F53
	v_lshrrev_b32_e32 v20, 4, v0                               // 000000002CB8: 20280084
	v_mul_i32_i24_e32 v20, 4, v20                              // 000000002CBC: 0C282884
	v_add_u32_e32 v20, s56, v20                                // 000000002CC0: 68282838
	v_add_u32_e32 v21, 1, v20                                  // 000000002CC4: 682A2881
	v_add_u32_e32 v22, 2, v20                                  // 000000002CC8: 682C2882
	v_add_u32_e32 v23, 3, v20                                  // 000000002CCC: 682E2883
	v_cmp_le_u32_e64 s[38:39], v20, v24                        // 000000002CD0: D0CB0026 00023114
	v_add_u32_e32 v20, 64, v20                                 // 000000002CD8: 682828C0
	s_nop 0                                                    // 000000002CDC: BF800000
	v_cndmask_b32_e64 v32, v25, v32, s[38:39]                  // 000000002CE0: D1000020 009A4119
	v_cmp_le_u32_e64 s[38:39], v21, v24                        // 000000002CE8: D0CB0026 00023115
	v_add_u32_e32 v21, 64, v21                                 // 000000002CF0: 682A2AC0
	s_nop 0                                                    // 000000002CF4: BF800000
	v_cndmask_b32_e64 v33, v25, v33, s[38:39]                  // 000000002CF8: D1000021 009A4319
	v_cmp_le_u32_e64 s[38:39], v22, v24                        // 000000002D00: D0CB0026 00023116
	v_add_u32_e32 v22, 64, v22                                 // 000000002D08: 682C2CC0
	s_nop 0                                                    // 000000002D0C: BF800000
	v_cndmask_b32_e64 v34, v25, v34, s[38:39]                  // 000000002D10: D1000022 009A4519
	v_cmp_le_u32_e64 s[38:39], v23, v24                        // 000000002D18: D0CB0026 00023117
	v_add_u32_e32 v23, 64, v23                                 // 000000002D20: 682E2EC0
	s_nop 0                                                    // 000000002D24: BF800000
	v_cndmask_b32_e64 v35, v25, v35, s[38:39]                  // 000000002D28: D1000023 009A4719

0000000000002d30 <label_074C>:
	s_waitcnt lgkmcnt(0)                                       // 000000002D30: BF8CC07F
	s_barrier                                                  // 000000002D34: BF8A0000
	v_mfma_f32_16x16x16_bf16 v[36:39], a[144:145], a[72:73], 0 // 000000002D38: D3E10024 1A029190
	v_mfma_f32_16x16x16_bf16 v[36:39], a[146:147], a[74:75], v[36:39]// 000000002D40: D3E10024 1C929592
	v_max3_f32 v24, v32, v33, v32                              // 000000002D48: D1D30018 04824320
	v_max3_f32 v24, v34, v35, v24                              // 000000002D50: D1D30018 04624722
	ds_write_b32 v3, v24 offset:53504                          // 000000002D58: D81AD100 00001803
	v_mfma_f32_16x16x16_bf16 v[36:39], a[148:149], a[76:77], v[36:39]// 000000002D60: D3E10024 1C929994
	v_mfma_f32_16x16x16_bf16 v[36:39], a[150:151], a[78:79], v[36:39]// 000000002D68: D3E10024 1C929D96
	buffer_load_dword v19, s[20:23], 0 offen offset:512 lds    // 000000002D70: E0511200 80050013
	s_add_u32 m0, 0x280, s34                                   // 000000002D78: 807C22FF 00000280
	v_mfma_f32_16x16x16_bf16 v[36:39], a[152:153], a[80:81], v[36:39]// 000000002D80: D3E10024 1C92A198
	v_mfma_f32_16x16x16_bf16 v[36:39], a[154:155], a[82:83], v[36:39]// 000000002D88: D3E10024 1C92A59A
	buffer_load_dword v18, s[20:23], 0 offen offset:640 lds    // 000000002D90: E0511280 80050012
	s_add_u32 m0, 0x280, s35                                   // 000000002D98: 807C23FF 00000280
	v_mfma_f32_16x16x16_bf16 v[36:39], a[156:157], a[84:85], v[36:39]// 000000002DA0: D3E10024 1C92A99C
	s_waitcnt lgkmcnt(0)                                       // 000000002DA8: BF8CC07F
	ds_read_b32 v20, v2 offset:53504                           // 000000002DAC: D86CD100 14000002
	ds_read_b32 v21, v2 offset:53568                           // 000000002DB4: D86CD140 15000002
	v_mfma_f32_16x16x16_bf16 v[36:39], a[158:159], a[86:87], v[36:39]// 000000002DBC: D3E10024 1C92AD9E
	ds_read_b32 v22, v2 offset:53632                           // 000000002DC4: D86CD180 16000002
	ds_read_b32 v23, v2 offset:53696                           // 000000002DCC: D86CD1C0 17000002
	v_mfma_f32_16x16x16_bf16 v[36:39], a[160:161], a[88:89], v[36:39]// 000000002DD4: D3E10024 1C92B1A0
	v_mfma_f32_16x16x16_bf16 v[36:39], a[162:163], a[90:91], v[36:39]// 000000002DDC: D3E10024 1C92B5A2
	buffer_load_dword v19, s[20:23], 0 offen offset:640 lds    // 000000002DE4: E0511280 80050013
	s_add_u32 m0, 0x300, s34                                   // 000000002DEC: 807C22FF 00000300
	v_mfma_f32_16x16x16_bf16 v[36:39], a[164:165], a[92:93], v[36:39]// 000000002DF4: D3E10024 1C92B9A4
	v_mfma_f32_16x16x16_bf16 v[36:39], a[166:167], a[94:95], v[36:39]// 000000002DFC: D3E10024 1C92BDA6
	buffer_load_dword v18, s[20:23], 0 offen offset:768 lds    // 000000002E04: E0511300 80050012
	s_add_u32 m0, 0x300, s35                                   // 000000002E0C: 807C23FF 00000300
	v_mfma_f32_16x16x16_bf16 v[36:39], a[168:169], a[96:97], v[36:39]// 000000002E14: D3E10024 1C92C1A8
	v_mfma_f32_16x16x16_bf16 v[36:39], a[170:171], a[98:99], v[36:39]// 000000002E1C: D3E10024 1C92C5AA
	buffer_load_dword v19, s[20:23], 0 offen offset:768 lds    // 000000002E24: E0511300 80050013
	s_add_u32 m0, 0x380, s34                                   // 000000002E2C: 807C22FF 00000380
	v_mfma_f32_16x16x16_bf16 v[36:39], a[172:173], a[100:101], v[36:39]// 000000002E34: D3E10024 1C92C9AC
	s_waitcnt lgkmcnt(0)                                       // 000000002E3C: BF8CC07F
	v_max3_f32 v24, v20, v21, v24                              // 000000002E40: D1D30018 04622B14
	v_max3_f32 v24, v22, v23, v24                              // 000000002E48: D1D30018 04622F16
	v_mfma_f32_16x16x16_bf16 v[36:39], a[174:175], a[102:103], v[36:39]// 000000002E50: D3E10024 1C92CDAE
	v_mfma_f32_16x16x16_bf16 v[36:39], a[176:177], a[104:105], v[36:39]// 000000002E58: D3E10024 1C92D1B0
	v_mfma_f32_16x16x16_bf16 v[36:39], a[178:179], a[106:107], v[36:39]// 000000002E60: D3E10024 1C92D5B2
	buffer_load_dword v18, s[20:23], 0 offen offset:896 lds    // 000000002E68: E0511380 80050012
	s_add_u32 m0, 0x380, s35                                   // 000000002E70: 807C23FF 00000380
	v_mfma_f32_16x16x16_bf16 v[36:39], a[180:181], a[108:109], v[36:39]// 000000002E78: D3E10024 1C92D9B4
	v_mfma_f32_16x16x16_bf16 v[36:39], a[182:183], a[110:111], v[36:39]// 000000002E80: D3E10024 1C92DDB6
	buffer_load_dword v19, s[20:23], 0 offen offset:896 lds    // 000000002E88: E0511380 80050013
	s_add_u32 m0, 0x400, s34                                   // 000000002E90: 807C22FF 00000400
	v_mfma_f32_16x16x16_bf16 v[36:39], a[184:185], a[112:113], v[36:39]// 000000002E98: D3E10024 1C92E1B8
	ds_read_b128 a[144:147], v7 offset:37120                   // 000000002EA0: DBFE9100 90000007
	ds_read_b128 a[148:151], v7 offset:38144                   // 000000002EA8: DBFE9500 94000007
	v_mfma_f32_16x16x16_bf16 v[36:39], a[186:187], a[114:115], v[36:39]// 000000002EB0: D3E10024 1C92E5BA
	buffer_load_dword v18, s[20:23], 0 offen offset:1024 lds   // 000000002EB8: E0511400 80050012
	s_add_u32 m0, 0x400, s35                                   // 000000002EC0: 807C23FF 00000400
	v_mfma_f32_16x16x16_bf16 v[36:39], a[188:189], a[116:117], v[36:39]// 000000002EC8: D3E10024 1C92E9BC
	v_mfma_f32_16x16x16_bf16 v[36:39], a[190:191], a[118:119], v[36:39]// 000000002ED0: D3E10024 1C92EDBE
	v_mfma_f32_16x16x16_bf16 v[36:39], a[192:193], a[120:121], v[36:39]// 000000002ED8: D3E10024 1C92F1C0
	ds_read_b128 a[152:155], v7 offset:39168                   // 000000002EE0: DBFE9900 98000007
	ds_read_b128 a[156:159], v7 offset:40192                   // 000000002EE8: DBFE9D00 9C000007
	v_mfma_f32_16x16x16_bf16 v[36:39], a[194:195], a[122:123], v[36:39]// 000000002EF0: D3E10024 1C92F5C2
	buffer_load_dword v19, s[20:23], 0 offen offset:1024 lds   // 000000002EF8: E0511400 80050013
	s_add_u32 m0, 0x480, s34                                   // 000000002F00: 807C22FF 00000480
	v_mfma_f32_16x16x16_bf16 v[36:39], a[196:197], a[124:125], v[36:39]// 000000002F08: D3E10024 1C92F9C4
	v_mfma_f32_16x16x16_bf16 v[36:39], a[198:199], a[126:127], v[36:39]// 000000002F10: D3E10024 1C92FDC6
	v_mfma_f32_16x16x16_bf16 v[36:39], a[200:201], a[128:129], v[36:39]// 000000002F18: D3E10024 1C9301C8
	ds_read_b128 a[160:163], v7 offset:41216                   // 000000002F20: DBFEA100 A0000007
	ds_read_b128 a[164:167], v7 offset:42240                   // 000000002F28: DBFEA500 A4000007
	v_mfma_f32_16x16x16_bf16 v[36:39], a[202:203], a[130:131], v[36:39]// 000000002F30: D3E10024 1C9305CA
	v_mfma_f32_16x16x16_bf16 v[36:39], a[204:205], a[132:133], v[36:39]// 000000002F38: D3E10024 1C9309CC
	v_mfma_f32_16x16x16_bf16 v[36:39], a[206:207], a[134:135], v[36:39]// 000000002F40: D3E10024 1C930DCE
	v_mfma_f32_16x16x16_bf16 v[36:39], a[208:209], a[136:137], v[36:39]// 000000002F48: D3E10024 1C9311D0
	ds_read_b128 a[168:171], v7 offset:43264                   // 000000002F50: DBFEA900 A8000007
	ds_read_b128 a[172:175], v7 offset:44288                   // 000000002F58: DBFEAD00 AC000007
	v_mfma_f32_16x16x16_bf16 v[36:39], a[210:211], a[138:139], v[36:39]// 000000002F60: D3E10024 1C9315D2
	v_mfma_f32_16x16x16_bf16 v[36:39], a[212:213], a[140:141], v[36:39]// 000000002F68: D3E10024 1C9319D4
	v_mfma_f32_16x16x16_bf16 v[36:39], a[214:215], a[142:143], v[36:39]// 000000002F70: D3E10024 1C931DD6
	v_mov_b32_e32 v25, 0xff7fffff                              // 000000002F78: 7E3202FF FF7FFFFF
	v_cmp_eq_u32_e64 s[38:39], v25, v12                        // 000000002F80: D0CA0026 00021919
	v_max_f32_e32 v20, v24, v12                                // 000000002F88: 16281918
	v_sub_f32_e32 v16, v12, v20                                // 000000002F8C: 0420290C
	v_cndmask_b32_e64 v16, v16, 0, s[38:39]                    // 000000002F90: D1000010 00990110
	v_mov_b32_e32 v12, v20                                     // 000000002F98: 7E180314
	v_mul_f32_e32 v21, s5, v20                                 // 000000002F9C: 0A2A2805
	v_mul_f32_e32 v16, s5, v16                                 // 000000002FA0: 0A202005
	v_exp_f32_e32 v16, v16                                     // 000000002FA4: 7E204110
	v_fma_f32 v32, v32, s5, -v21                               // 000000002FA8: D1CB0020 84540B20
	v_fma_f32 v33, v33, s5, -v21                               // 000000002FB0: D1CB0021 84540B21
	v_fma_f32 v34, v34, s5, -v21                               // 000000002FB8: D1CB0022 84540B22
	v_fma_f32 v35, v35, s5, -v21                               // 000000002FC0: D1CB0023 84540B23
	v_exp_f32_e32 v32, v32                                     // 000000002FC8: 7E404120
	v_exp_f32_e32 v33, v33                                     // 000000002FCC: 7E424121
	v_exp_f32_e32 v34, v34                                     // 000000002FD0: 7E444122
	v_exp_f32_e32 v35, v35                                     // 000000002FD4: 7E464123
	v_mul_f32_e32 v14, v16, v14                                // 000000002FD8: 0A1C1D10
	v_mov_b32_e32 v22, v32                                     // 000000002FDC: 7E2C0320
	v_add_f32_e32 v22, v33, v22                                // 000000002FE0: 022C2D21
	v_add_f32_e32 v22, v34, v22                                // 000000002FE4: 022C2D22
	v_add_f32_e32 v22, v35, v22                                // 000000002FE8: 022C2D23
	v_add_f32_e32 v14, v22, v14                                // 000000002FEC: 021C1D16
	v_mov_b32_e32 v29, 0xffff0000                              // 000000002FF0: 7E3A02FF FFFF0000
	v_mov_b32_e32 v30, 0x7fff0000                              // 000000002FF8: 7E3C02FF 7FFF0000
	v_mov_b32_e32 v31, 0x7fff                                  // 000000003000: 7E3E02FF 00007FFF
	v_cmp_u_f32_e64 s[38:39], v32, v32                         // 000000003008: D0480026 00024120
	v_add3_u32 v28, v32, v31, 1                                // 000000003010: D1FF001C 02063F20
	v_cndmask_b32_e64 v20, v28, v30, s[38:39]                  // 000000003018: D1000014 009A3D1C
	v_cmp_u_f32_e64 s[38:39], v33, v33                         // 000000003020: D0480026 00024321
	v_add3_u32 v28, v33, v31, 1                                // 000000003028: D1FF001C 02063F21
	v_cndmask_b32_e64 v21, v28, v30, s[38:39]                  // 000000003030: D1000015 009A3D1C
	v_perm_b32 v32, v21, v20, s52                              // 000000003038: D1ED0020 00D22915
	v_cmp_u_f32_e64 s[38:39], v34, v34                         // 000000003040: D0480026 00024522
	v_add3_u32 v28, v34, v31, 1                                // 000000003048: D1FF001C 02063F22
	v_cndmask_b32_e64 v20, v28, v30, s[38:39]                  // 000000003050: D1000014 009A3D1C
	v_cmp_u_f32_e64 s[38:39], v35, v35                         // 000000003058: D0480026 00024723
	v_add3_u32 v28, v35, v31, 1                                // 000000003060: D1FF001C 02063F23
	v_cndmask_b32_e64 v21, v28, v30, s[38:39]                  // 000000003068: D1000015 009A3D1C
	v_perm_b32 v33, v21, v20, s52                              // 000000003070: D1ED0021 00D22915
	s_nop 2                                                    // 000000003078: BF800002
	s_cmp_le_i32 s83, s82                                      // 00000000307C: BF055253
	s_cbranch_scc1 label_0843                                  // 000000003080: BF850022
	v_mov_b32_e32 v25, 0xff800000                              // 000000003084: 7E3202FF FF800000
	v_mov_b32_e32 v24, s82                                     // 00000000308C: 7E300252
	s_sub_u32 s56, s83, 15                                     // 000000003090: 80B88F53
	v_lshrrev_b32_e32 v20, 4, v0                               // 000000003094: 20280084
	v_mul_i32_i24_e32 v20, 4, v20                              // 000000003098: 0C282884
	v_add_u32_e32 v20, s56, v20                                // 00000000309C: 68282838
	v_add_u32_e32 v21, 1, v20                                  // 0000000030A0: 682A2881
	v_add_u32_e32 v22, 2, v20                                  // 0000000030A4: 682C2882
	v_add_u32_e32 v23, 3, v20                                  // 0000000030A8: 682E2883
	v_cmp_le_u32_e64 s[38:39], v20, v24                        // 0000000030AC: D0CB0026 00023114
	v_add_u32_e32 v20, 64, v20                                 // 0000000030B4: 682828C0
	s_nop 0                                                    // 0000000030B8: BF800000
	v_cndmask_b32_e64 v36, v25, v36, s[38:39]                  // 0000000030BC: D1000024 009A4919
	v_cmp_le_u32_e64 s[38:39], v21, v24                        // 0000000030C4: D0CB0026 00023115
	v_add_u32_e32 v21, 64, v21                                 // 0000000030CC: 682A2AC0
	s_nop 0                                                    // 0000000030D0: BF800000
	v_cndmask_b32_e64 v37, v25, v37, s[38:39]                  // 0000000030D4: D1000025 009A4B19
	v_cmp_le_u32_e64 s[38:39], v22, v24                        // 0000000030DC: D0CB0026 00023116
	v_add_u32_e32 v22, 64, v22                                 // 0000000030E4: 682C2CC0
	s_nop 0                                                    // 0000000030E8: BF800000
	v_cndmask_b32_e64 v38, v25, v38, s[38:39]                  // 0000000030EC: D1000026 009A4D19
	v_cmp_le_u32_e64 s[38:39], v23, v24                        // 0000000030F4: D0CB0026 00023117
	v_add_u32_e32 v23, 64, v23                                 // 0000000030FC: 682E2EC0
	s_nop 0                                                    // 000000003100: BF800000
	v_cndmask_b32_e64 v39, v25, v39, s[38:39]                  // 000000003104: D1000027 009A4F19

000000000000310c <label_0843>:
	s_add_u32 s83, s84, s83                                    // 00000000310C: 80535354
	s_nop 0                                                    // 000000003110: BF800000
	v_mul_u32_u24_dpp v18, v11, v9 row_newbcast:0 row_mask:0xf bank_mask:0xf// 000000003114: 102412FA FF01500B
	v_mul_u32_u24_dpp v19, v11, v9 row_newbcast:8 row_mask:0xf bank_mask:0xf// 00000000311C: 102612FA FF01580B
	v_add_u32_e32 v18, v18, v1                                 // 000000003124: 68240312
	v_add_u32_e32 v19, v19, v1                                 // 000000003128: 68260313
	s_mov_b32 m0, s36                                          // 00000000312C: BEFC0024
	v_mov_b32_e32 v22, v16                                     // 000000003130: 7E2C0310
	v_mov_b32_e32 v23, v16                                     // 000000003134: 7E2E0310
	v_pk_mul_f32 v[40:41], v[22:23], v[40:41]                  // 000000003138: D3B14028 18025116
	v_pk_mul_f32 v[42:43], v[22:23], v[42:43]                  // 000000003140: D3B1402A 18025516
	v_pk_mul_f32 v[44:45], v[22:23], v[44:45]                  // 000000003148: D3B1402C 18025916
	v_pk_mul_f32 v[46:47], v[22:23], v[46:47]                  // 000000003150: D3B1402E 18025D16
	v_pk_mul_f32 v[48:49], v[22:23], v[48:49]                  // 000000003158: D3B14030 18026116
	v_pk_mul_f32 v[50:51], v[22:23], v[50:51]                  // 000000003160: D3B14032 18026516
	v_pk_mul_f32 v[52:53], v[22:23], v[52:53]                  // 000000003168: D3B14034 18026916
	v_pk_mul_f32 v[54:55], v[22:23], v[54:55]                  // 000000003170: D3B14036 18026D16
	v_pk_mul_f32 v[56:57], v[22:23], v[56:57]                  // 000000003178: D3B14038 18027116
	v_pk_mul_f32 v[58:59], v[22:23], v[58:59]                  // 000000003180: D3B1403A 18027516
	v_pk_mul_f32 v[60:61], v[22:23], v[60:61]                  // 000000003188: D3B1403C 18027916
	v_pk_mul_f32 v[62:63], v[22:23], v[62:63]                  // 000000003190: D3B1403E 18027D16
	v_pk_mul_f32 v[64:65], v[22:23], v[64:65]                  // 000000003198: D3B14040 18028116
	v_pk_mul_f32 v[66:67], v[22:23], v[66:67]                  // 0000000031A0: D3B14042 18028516
	v_pk_mul_f32 v[68:69], v[22:23], v[68:69]                  // 0000000031A8: D3B14044 18028916
	v_pk_mul_f32 v[70:71], v[22:23], v[70:71]                  // 0000000031B0: D3B14046 18028D16
	v_pk_mul_f32 v[72:73], v[22:23], v[72:73]                  // 0000000031B8: D3B14048 18029116
	v_pk_mul_f32 v[74:75], v[22:23], v[74:75]                  // 0000000031C0: D3B1404A 18029516
	v_pk_mul_f32 v[76:77], v[22:23], v[76:77]                  // 0000000031C8: D3B1404C 18029916
	v_pk_mul_f32 v[78:79], v[22:23], v[78:79]                  // 0000000031D0: D3B1404E 18029D16
	v_pk_mul_f32 v[80:81], v[22:23], v[80:81]                  // 0000000031D8: D3B14050 1802A116
	v_pk_mul_f32 v[82:83], v[22:23], v[82:83]                  // 0000000031E0: D3B14052 1802A516
	v_pk_mul_f32 v[84:85], v[22:23], v[84:85]                  // 0000000031E8: D3B14054 1802A916
	v_pk_mul_f32 v[86:87], v[22:23], v[86:87]                  // 0000000031F0: D3B14056 1802AD16
	v_pk_mul_f32 v[88:89], v[22:23], v[88:89]                  // 0000000031F8: D3B14058 1802B116
	v_pk_mul_f32 v[90:91], v[22:23], v[90:91]                  // 000000003200: D3B1405A 1802B516
	v_pk_mul_f32 v[92:93], v[22:23], v[92:93]                  // 000000003208: D3B1405C 1802B916
	v_pk_mul_f32 v[94:95], v[22:23], v[94:95]                  // 000000003210: D3B1405E 1802BD16
	v_pk_mul_f32 v[96:97], v[22:23], v[96:97]                  // 000000003218: D3B14060 1802C116
	v_pk_mul_f32 v[98:99], v[22:23], v[98:99]                  // 000000003220: D3B14062 1802C516
	v_pk_mul_f32 v[100:101], v[22:23], v[100:101]              // 000000003228: D3B14064 1802C916
	v_pk_mul_f32 v[102:103], v[22:23], v[102:103]              // 000000003230: D3B14066 1802CD16
	v_pk_mul_f32 v[104:105], v[22:23], v[104:105]              // 000000003238: D3B14068 1802D116
	v_pk_mul_f32 v[106:107], v[22:23], v[106:107]              // 000000003240: D3B1406A 1802D516
	v_pk_mul_f32 v[108:109], v[22:23], v[108:109]              // 000000003248: D3B1406C 1802D916
	v_pk_mul_f32 v[110:111], v[22:23], v[110:111]              // 000000003250: D3B1406E 1802DD16
	v_pk_mul_f32 v[112:113], v[22:23], v[112:113]              // 000000003258: D3B14070 1802E116
	v_pk_mul_f32 v[114:115], v[22:23], v[114:115]              // 000000003260: D3B14072 1802E516
	v_pk_mul_f32 v[116:117], v[22:23], v[116:117]              // 000000003268: D3B14074 1802E916
	v_pk_mul_f32 v[118:119], v[22:23], v[118:119]              // 000000003270: D3B14076 1802ED16
	v_pk_mul_f32 v[120:121], v[22:23], v[120:121]              // 000000003278: D3B14078 1802F116
	v_pk_mul_f32 v[122:123], v[22:23], v[122:123]              // 000000003280: D3B1407A 1802F516
	v_pk_mul_f32 v[124:125], v[22:23], v[124:125]              // 000000003288: D3B1407C 1802F916
	v_pk_mul_f32 v[126:127], v[22:23], v[126:127]              // 000000003290: D3B1407E 1802FD16
	v_pk_mul_f32 v[128:129], v[22:23], v[128:129]              // 000000003298: D3B14080 18030116
	v_pk_mul_f32 v[130:131], v[22:23], v[130:131]              // 0000000032A0: D3B14082 18030516
	v_pk_mul_f32 v[132:133], v[22:23], v[132:133]              // 0000000032A8: D3B14084 18030916
	v_pk_mul_f32 v[134:135], v[22:23], v[134:135]              // 0000000032B0: D3B14086 18030D16
	v_pk_mul_f32 v[136:137], v[22:23], v[136:137]              // 0000000032B8: D3B14088 18031116
	v_pk_mul_f32 v[138:139], v[22:23], v[138:139]              // 0000000032C0: D3B1408A 18031516
	v_pk_mul_f32 v[140:141], v[22:23], v[140:141]              // 0000000032C8: D3B1408C 18031916
	v_pk_mul_f32 v[142:143], v[22:23], v[142:143]              // 0000000032D0: D3B1408E 18031D16
	v_pk_mul_f32 v[144:145], v[22:23], v[144:145]              // 0000000032D8: D3B14090 18032116
	v_pk_mul_f32 v[146:147], v[22:23], v[146:147]              // 0000000032E0: D3B14092 18032516
	v_accvgpr_read_b32 v20, a216                               // 0000000032E8: D3D84014 180001D8
	v_accvgpr_read_b32 v21, a217                               // 0000000032F0: D3D84015 180001D9
	v_pk_mul_f32 v[20:21], v[22:23], v[20:21]                  // 0000000032F8: D3B14014 18022916
	v_accvgpr_write_b32 a216, v20                              // 000000003300: D3D940D8 18000114
	v_accvgpr_write_b32 a217, v21                              // 000000003308: D3D940D9 18000115
	v_accvgpr_read_b32 v20, a218                               // 000000003310: D3D84014 180001DA
	v_accvgpr_read_b32 v21, a219                               // 000000003318: D3D84015 180001DB
	v_pk_mul_f32 v[20:21], v[22:23], v[20:21]                  // 000000003320: D3B14014 18022916
	v_accvgpr_write_b32 a218, v20                              // 000000003328: D3D940DA 18000114
	v_accvgpr_write_b32 a219, v21                              // 000000003330: D3D940DB 18000115
	v_accvgpr_read_b32 v20, a220                               // 000000003338: D3D84014 180001DC
	v_accvgpr_read_b32 v21, a221                               // 000000003340: D3D84015 180001DD
	v_pk_mul_f32 v[20:21], v[22:23], v[20:21]                  // 000000003348: D3B14014 18022916
	v_accvgpr_write_b32 a220, v20                              // 000000003350: D3D940DC 18000114
	v_accvgpr_write_b32 a221, v21                              // 000000003358: D3D940DD 18000115
	v_accvgpr_read_b32 v20, a222                               // 000000003360: D3D84014 180001DE
	v_accvgpr_read_b32 v21, a223                               // 000000003368: D3D84015 180001DF
	v_pk_mul_f32 v[20:21], v[22:23], v[20:21]                  // 000000003370: D3B14014 18022916
	v_accvgpr_write_b32 a222, v20                              // 000000003378: D3D940DE 18000114
	v_accvgpr_write_b32 a223, v21                              // 000000003380: D3D940DF 18000115
	v_accvgpr_read_b32 v20, a224                               // 000000003388: D3D84014 180001E0
	v_accvgpr_read_b32 v21, a225                               // 000000003390: D3D84015 180001E1
	v_pk_mul_f32 v[20:21], v[22:23], v[20:21]                  // 000000003398: D3B14014 18022916
	v_accvgpr_write_b32 a224, v20                              // 0000000033A0: D3D940E0 18000114
	v_accvgpr_write_b32 a225, v21                              // 0000000033A8: D3D940E1 18000115
	v_accvgpr_read_b32 v20, a226                               // 0000000033B0: D3D84014 180001E2
	v_accvgpr_read_b32 v21, a227                               // 0000000033B8: D3D84015 180001E3
	v_pk_mul_f32 v[20:21], v[22:23], v[20:21]                  // 0000000033C0: D3B14014 18022916
	v_accvgpr_write_b32 a226, v20                              // 0000000033C8: D3D940E2 18000114
	v_accvgpr_write_b32 a227, v21                              // 0000000033D0: D3D940E3 18000115
	v_accvgpr_read_b32 v20, a228                               // 0000000033D8: D3D84014 180001E4
	v_accvgpr_read_b32 v21, a229                               // 0000000033E0: D3D84015 180001E5
	v_pk_mul_f32 v[20:21], v[22:23], v[20:21]                  // 0000000033E8: D3B14014 18022916
	v_accvgpr_write_b32 a228, v20                              // 0000000033F0: D3D940E4 18000114
	v_accvgpr_write_b32 a229, v21                              // 0000000033F8: D3D940E5 18000115
	v_accvgpr_read_b32 v20, a230                               // 000000003400: D3D84014 180001E6
	v_accvgpr_read_b32 v21, a231                               // 000000003408: D3D84015 180001E7
	v_pk_mul_f32 v[20:21], v[22:23], v[20:21]                  // 000000003410: D3B14014 18022916
	v_accvgpr_write_b32 a230, v20                              // 000000003418: D3D940E6 18000114
	v_accvgpr_write_b32 a231, v21                              // 000000003420: D3D940E7 18000115
	v_accvgpr_read_b32 v20, a232                               // 000000003428: D3D84014 180001E8
	v_accvgpr_read_b32 v21, a233                               // 000000003430: D3D84015 180001E9
	v_pk_mul_f32 v[20:21], v[22:23], v[20:21]                  // 000000003438: D3B14014 18022916
	v_accvgpr_write_b32 a232, v20                              // 000000003440: D3D940E8 18000114
	v_accvgpr_write_b32 a233, v21                              // 000000003448: D3D940E9 18000115
	v_accvgpr_read_b32 v20, a234                               // 000000003450: D3D84014 180001EA
	v_accvgpr_read_b32 v21, a235                               // 000000003458: D3D84015 180001EB
	v_pk_mul_f32 v[20:21], v[22:23], v[20:21]                  // 000000003460: D3B14014 18022916
	v_accvgpr_write_b32 a234, v20                              // 000000003468: D3D940EA 18000114
	v_accvgpr_write_b32 a235, v21                              // 000000003470: D3D940EB 18000115
	s_waitcnt lgkmcnt(0)                                       // 000000003478: BF8CC07F
	v_mfma_f32_16x16x16_bf16 v[40:43], a[144:145], v[32:33], v[40:43]// 00000000347C: D3E10028 0CA24190
	ds_read_b128 a[176:179], v7 offset:45312                   // 000000003484: DBFEB100 B0000007
	ds_read_b128 a[180:183], v7 offset:46336                   // 00000000348C: DBFEB500 B4000007
	v_mfma_f32_16x16x16_bf16 v[44:47], a[146:147], v[32:33], v[44:47]// 000000003494: D3E1002C 0CB24192
	v_mfma_f32_16x16x16_bf16 v[48:51], a[148:149], v[32:33], v[48:51]// 00000000349C: D3E10030 0CC24194
	v_mfma_f32_16x16x16_bf16 v[52:55], a[150:151], v[32:33], v[52:55]// 0000000034A4: D3E10034 0CD24196
	v_mfma_f32_16x16x16_bf16 v[56:59], a[152:153], v[32:33], v[56:59]// 0000000034AC: D3E10038 0CE24198
	ds_read_b128 a[184:187], v7 offset:47360                   // 0000000034B4: DBFEB900 B8000007
	ds_read_b128 a[188:191], v7 offset:48384                   // 0000000034BC: DBFEBD00 BC000007
	v_mfma_f32_16x16x16_bf16 v[60:63], a[154:155], v[32:33], v[60:63]// 0000000034C4: D3E1003C 0CF2419A
	v_mfma_f32_16x16x16_bf16 v[64:67], a[156:157], v[32:33], v[64:67]// 0000000034CC: D3E10040 0D02419C
	v_mfma_f32_16x16x16_bf16 v[68:71], a[158:159], v[32:33], v[68:71]// 0000000034D4: D3E10044 0D12419E
	v_mfma_f32_16x16x16_bf16 v[72:75], a[160:161], v[32:33], v[72:75]// 0000000034DC: D3E10048 0D2241A0
	ds_read_b128 a[192:195], v7 offset:49408                   // 0000000034E4: DBFEC100 C0000007
	ds_read_b128 a[196:199], v7 offset:50432                   // 0000000034EC: DBFEC500 C4000007
	v_mfma_f32_16x16x16_bf16 v[76:79], a[162:163], v[32:33], v[76:79]// 0000000034F4: D3E1004C 0D3241A2
	v_mfma_f32_16x16x16_bf16 v[80:83], a[164:165], v[32:33], v[80:83]// 0000000034FC: D3E10050 0D4241A4
	v_mfma_f32_16x16x16_bf16 v[84:87], a[166:167], v[32:33], v[84:87]// 000000003504: D3E10054 0D5241A6
	v_mfma_f32_16x16x16_bf16 v[88:91], a[168:169], v[32:33], v[88:91]// 00000000350C: D3E10058 0D6241A8
	ds_read_b128 a[200:203], v7 offset:51456                   // 000000003514: DBFEC900 C8000007
	ds_read_b128 a[204:207], v7 offset:52480                   // 00000000351C: DBFECD00 CC000007
	v_mfma_f32_16x16x16_bf16 v[92:95], a[170:171], v[32:33], v[92:95]// 000000003524: D3E1005C 0D7241AA
	v_mfma_f32_16x16x16_bf16 v[96:99], a[172:173], v[32:33], v[96:99]// 00000000352C: D3E10060 0D8241AC
	v_mfma_f32_16x16x16_bf16 v[100:103], a[174:175], v[32:33], v[100:103]// 000000003534: D3E10064 0D9241AE
	s_waitcnt lgkmcnt(4)                                       // 00000000353C: BF8CC47F
	v_mfma_f32_16x16x16_bf16 v[104:107], a[176:177], v[32:33], v[104:107]// 000000003540: D3E10068 0DA241B0
	v_max3_f32 v24, v36, v37, v36                              // 000000003548: D1D30018 04924B24
	v_max3_f32 v24, v38, v39, v24                              // 000000003550: D1D30018 04624F26
	ds_write_b32 v3, v24 offset:54528                          // 000000003558: D81AD500 00001803
	v_mfma_f32_16x16x16_bf16 v[108:111], a[178:179], v[32:33], v[108:111]// 000000003560: D3E1006C 0DB241B2
	v_mfma_f32_16x16x16_bf16 v[112:115], a[180:181], v[32:33], v[112:115]// 000000003568: D3E10070 0DC241B4
	v_mfma_f32_16x16x16_bf16 v[116:119], a[182:183], v[32:33], v[116:119]// 000000003570: D3E10074 0DD241B6
	v_mfma_f32_16x16x16_bf16 v[120:123], a[184:185], v[32:33], v[120:123]// 000000003578: D3E10078 0DE241B8
	v_mfma_f32_16x16x16_bf16 v[124:127], a[186:187], v[32:33], v[124:127]// 000000003580: D3E1007C 0DF241BA
	v_mfma_f32_16x16x16_bf16 v[128:131], a[188:189], v[32:33], v[128:131]// 000000003588: D3E10080 0E0241BC
	v_mfma_f32_16x16x16_bf16 v[132:135], a[190:191], v[32:33], v[132:135]// 000000003590: D3E10084 0E1241BE
	s_waitcnt lgkmcnt(0)                                       // 000000003598: BF8CC07F
	v_mfma_f32_16x16x16_bf16 v[136:139], a[192:193], v[32:33], v[136:139]// 00000000359C: D3E10088 0E2241C0
	s_waitcnt lgkmcnt(0)                                       // 0000000035A4: BF8CC07F
	ds_read_b32 v20, v2 offset:54528                           // 0000000035A8: D86CD500 14000002
	ds_read_b32 v21, v2 offset:54592                           // 0000000035B0: D86CD540 15000002
	v_mfma_f32_16x16x16_bf16 v[140:143], a[194:195], v[32:33], v[140:143]// 0000000035B8: D3E1008C 0E3241C2
	ds_read_b32 v22, v2 offset:54656                           // 0000000035C0: D86CD580 16000002
	ds_read_b32 v23, v2 offset:54720                           // 0000000035C8: D86CD5C0 17000002
	v_mfma_f32_16x16x16_bf16 v[144:147], a[196:197], v[32:33], v[144:147]// 0000000035D0: D3E10090 0E4241C4
	v_mfma_f32_16x16x16_bf16 a[216:219], a[198:199], v[32:33], a[216:219]// 0000000035D8: D3E180D8 0F6241C6
	v_mfma_f32_16x16x16_bf16 a[220:223], a[200:201], v[32:33], a[220:223]// 0000000035E0: D3E180DC 0F7241C8
	v_mfma_f32_16x16x16_bf16 a[224:227], a[202:203], v[32:33], a[224:227]// 0000000035E8: D3E180E0 0F8241CA
	v_mfma_f32_16x16x16_bf16 a[228:231], a[204:205], v[32:33], a[228:231]// 0000000035F0: D3E180E4 0F9241CC
	v_mfma_f32_16x16x16_bf16 a[232:235], a[206:207], v[32:33], a[232:235]// 0000000035F8: D3E180E8 0FA241CE
	s_waitcnt lgkmcnt(0)                                       // 000000003600: BF8CC07F
	v_max3_f32 v24, v20, v21, v24                              // 000000003604: D1D30018 04622B14
	v_max3_f32 v24, v22, v23, v24                              // 00000000360C: D1D30018 04622F16
	v_mov_b32_e32 v25, 0xff7fffff                              // 000000003614: 7E3202FF FF7FFFFF
	v_cmp_eq_u32_e64 s[38:39], v25, v13                        // 00000000361C: D0CA0026 00021B19
	v_max_f32_e32 v20, v24, v13                                // 000000003624: 16281B18
	v_sub_f32_e32 v17, v13, v20                                // 000000003628: 0422290D
	v_cndmask_b32_e64 v17, v17, 0, s[38:39]                    // 00000000362C: D1000011 00990111
	v_mov_b32_e32 v13, v20                                     // 000000003634: 7E1A0314
	v_mul_f32_e32 v21, s5, v20                                 // 000000003638: 0A2A2805
	v_mul_f32_e32 v17, s5, v17                                 // 00000000363C: 0A222205
	v_exp_f32_e32 v17, v17                                     // 000000003640: 7E224111
	v_fma_f32 v36, v36, s5, -v21                               // 000000003644: D1CB0024 84540B24
	v_fma_f32 v37, v37, s5, -v21                               // 00000000364C: D1CB0025 84540B25
	v_fma_f32 v38, v38, s5, -v21                               // 000000003654: D1CB0026 84540B26
	v_fma_f32 v39, v39, s5, -v21                               // 00000000365C: D1CB0027 84540B27
	v_exp_f32_e32 v36, v36                                     // 000000003664: 7E484124
	v_exp_f32_e32 v37, v37                                     // 000000003668: 7E4A4125
	v_exp_f32_e32 v38, v38                                     // 00000000366C: 7E4C4126
	v_exp_f32_e32 v39, v39                                     // 000000003670: 7E4E4127
	v_mul_f32_e32 v15, v17, v15                                // 000000003674: 0A1E1F11
	v_mov_b32_e32 v22, v36                                     // 000000003678: 7E2C0324
	v_add_f32_e32 v22, v37, v22                                // 00000000367C: 022C2D25
	v_add_f32_e32 v22, v38, v22                                // 000000003680: 022C2D26
	v_add_f32_e32 v22, v39, v22                                // 000000003684: 022C2D27
	v_add_f32_e32 v15, v22, v15                                // 000000003688: 021E1F16
	v_mov_b32_e32 v29, 0xffff0000                              // 00000000368C: 7E3A02FF FFFF0000
	v_mov_b32_e32 v30, 0x7fff0000                              // 000000003694: 7E3C02FF 7FFF0000
	v_mov_b32_e32 v31, 0x7fff                                  // 00000000369C: 7E3E02FF 00007FFF
	v_cmp_u_f32_e64 s[38:39], v36, v36                         // 0000000036A4: D0480026 00024924
	v_add3_u32 v28, v36, v31, 1                                // 0000000036AC: D1FF001C 02063F24
	v_cndmask_b32_e64 v20, v28, v30, s[38:39]                  // 0000000036B4: D1000014 009A3D1C
	v_cmp_u_f32_e64 s[38:39], v37, v37                         // 0000000036BC: D0480026 00024B25
	v_add3_u32 v28, v37, v31, 1                                // 0000000036C4: D1FF001C 02063F25
	v_cndmask_b32_e64 v21, v28, v30, s[38:39]                  // 0000000036CC: D1000015 009A3D1C
	v_perm_b32 v36, v21, v20, s52                              // 0000000036D4: D1ED0024 00D22915
	v_cmp_u_f32_e64 s[38:39], v38, v38                         // 0000000036DC: D0480026 00024D26
	v_add3_u32 v28, v38, v31, 1                                // 0000000036E4: D1FF001C 02063F26
	v_cndmask_b32_e64 v20, v28, v30, s[38:39]                  // 0000000036EC: D1000014 009A3D1C
	v_cmp_u_f32_e64 s[38:39], v39, v39                         // 0000000036F4: D0480026 00024F27
	v_add3_u32 v28, v39, v31, 1                                // 0000000036FC: D1FF001C 02063F27
	v_cndmask_b32_e64 v21, v28, v30, s[38:39]                  // 000000003704: D1000015 009A3D1C
	v_perm_b32 v37, v21, v20, s52                              // 00000000370C: D1ED0025 00D22915
	s_nop 2                                                    // 000000003714: BF800002
	v_mov_b32_e32 v22, v17                                     // 000000003718: 7E2C0311
	v_mov_b32_e32 v23, v17                                     // 00000000371C: 7E2E0311
	v_pk_mul_f32 v[148:149], v[22:23], v[148:149]              // 000000003720: D3B14094 18032916
	v_pk_mul_f32 v[150:151], v[22:23], v[150:151]              // 000000003728: D3B14096 18032D16
	v_pk_mul_f32 v[152:153], v[22:23], v[152:153]              // 000000003730: D3B14098 18033116
	v_pk_mul_f32 v[154:155], v[22:23], v[154:155]              // 000000003738: D3B1409A 18033516
	v_pk_mul_f32 v[156:157], v[22:23], v[156:157]              // 000000003740: D3B1409C 18033916
	v_pk_mul_f32 v[158:159], v[22:23], v[158:159]              // 000000003748: D3B1409E 18033D16
	v_pk_mul_f32 v[160:161], v[22:23], v[160:161]              // 000000003750: D3B140A0 18034116
	v_pk_mul_f32 v[162:163], v[22:23], v[162:163]              // 000000003758: D3B140A2 18034516
	v_pk_mul_f32 v[164:165], v[22:23], v[164:165]              // 000000003760: D3B140A4 18034916
	v_pk_mul_f32 v[166:167], v[22:23], v[166:167]              // 000000003768: D3B140A6 18034D16
	v_pk_mul_f32 v[168:169], v[22:23], v[168:169]              // 000000003770: D3B140A8 18035116
	v_pk_mul_f32 v[170:171], v[22:23], v[170:171]              // 000000003778: D3B140AA 18035516
	v_pk_mul_f32 v[172:173], v[22:23], v[172:173]              // 000000003780: D3B140AC 18035916
	v_pk_mul_f32 v[174:175], v[22:23], v[174:175]              // 000000003788: D3B140AE 18035D16
	v_pk_mul_f32 v[176:177], v[22:23], v[176:177]              // 000000003790: D3B140B0 18036116
	v_pk_mul_f32 v[178:179], v[22:23], v[178:179]              // 000000003798: D3B140B2 18036516
	v_pk_mul_f32 v[180:181], v[22:23], v[180:181]              // 0000000037A0: D3B140B4 18036916
	v_pk_mul_f32 v[182:183], v[22:23], v[182:183]              // 0000000037A8: D3B140B6 18036D16
	v_pk_mul_f32 v[184:185], v[22:23], v[184:185]              // 0000000037B0: D3B140B8 18037116
	v_pk_mul_f32 v[186:187], v[22:23], v[186:187]              // 0000000037B8: D3B140BA 18037516
	v_pk_mul_f32 v[188:189], v[22:23], v[188:189]              // 0000000037C0: D3B140BC 18037916
	v_pk_mul_f32 v[190:191], v[22:23], v[190:191]              // 0000000037C8: D3B140BE 18037D16
	v_pk_mul_f32 v[192:193], v[22:23], v[192:193]              // 0000000037D0: D3B140C0 18038116
	v_pk_mul_f32 v[194:195], v[22:23], v[194:195]              // 0000000037D8: D3B140C2 18038516
	v_pk_mul_f32 v[196:197], v[22:23], v[196:197]              // 0000000037E0: D3B140C4 18038916
	v_pk_mul_f32 v[198:199], v[22:23], v[198:199]              // 0000000037E8: D3B140C6 18038D16
	v_pk_mul_f32 v[200:201], v[22:23], v[200:201]              // 0000000037F0: D3B140C8 18039116
	v_pk_mul_f32 v[202:203], v[22:23], v[202:203]              // 0000000037F8: D3B140CA 18039516
	v_pk_mul_f32 v[204:205], v[22:23], v[204:205]              // 000000003800: D3B140CC 18039916
	v_pk_mul_f32 v[206:207], v[22:23], v[206:207]              // 000000003808: D3B140CE 18039D16
	v_pk_mul_f32 v[208:209], v[22:23], v[208:209]              // 000000003810: D3B140D0 1803A116
	v_pk_mul_f32 v[210:211], v[22:23], v[210:211]              // 000000003818: D3B140D2 1803A516
	v_pk_mul_f32 v[212:213], v[22:23], v[212:213]              // 000000003820: D3B140D4 1803A916
	v_pk_mul_f32 v[214:215], v[22:23], v[214:215]              // 000000003828: D3B140D6 1803AD16
	v_pk_mul_f32 v[216:217], v[22:23], v[216:217]              // 000000003830: D3B140D8 1803B116
	v_pk_mul_f32 v[218:219], v[22:23], v[218:219]              // 000000003838: D3B140DA 1803B516
	v_pk_mul_f32 v[220:221], v[22:23], v[220:221]              // 000000003840: D3B140DC 1803B916
	v_pk_mul_f32 v[222:223], v[22:23], v[222:223]              // 000000003848: D3B140DE 1803BD16
	v_pk_mul_f32 v[224:225], v[22:23], v[224:225]              // 000000003850: D3B140E0 1803C116
	v_pk_mul_f32 v[226:227], v[22:23], v[226:227]              // 000000003858: D3B140E2 1803C516
	v_pk_mul_f32 v[228:229], v[22:23], v[228:229]              // 000000003860: D3B140E4 1803C916
	v_pk_mul_f32 v[230:231], v[22:23], v[230:231]              // 000000003868: D3B140E6 1803CD16
	v_pk_mul_f32 v[232:233], v[22:23], v[232:233]              // 000000003870: D3B140E8 1803D116
	v_pk_mul_f32 v[234:235], v[22:23], v[234:235]              // 000000003878: D3B140EA 1803D516
	v_pk_mul_f32 v[236:237], v[22:23], v[236:237]              // 000000003880: D3B140EC 1803D916
	v_pk_mul_f32 v[238:239], v[22:23], v[238:239]              // 000000003888: D3B140EE 1803DD16
	v_pk_mul_f32 v[240:241], v[22:23], v[240:241]              // 000000003890: D3B140F0 1803E116
	v_pk_mul_f32 v[242:243], v[22:23], v[242:243]              // 000000003898: D3B140F2 1803E516
	v_pk_mul_f32 v[244:245], v[22:23], v[244:245]              // 0000000038A0: D3B140F4 1803E916
	v_pk_mul_f32 v[246:247], v[22:23], v[246:247]              // 0000000038A8: D3B140F6 1803ED16
	v_pk_mul_f32 v[248:249], v[22:23], v[248:249]              // 0000000038B0: D3B140F8 1803F116
	v_pk_mul_f32 v[250:251], v[22:23], v[250:251]              // 0000000038B8: D3B140FA 1803F516
	v_pk_mul_f32 v[252:253], v[22:23], v[252:253]              // 0000000038C0: D3B140FC 1803F916
	v_pk_mul_f32 v[254:255], v[22:23], v[254:255]              // 0000000038C8: D3B140FE 1803FD16
	v_accvgpr_read_b32 v20, a236                               // 0000000038D0: D3D84014 180001EC
	v_accvgpr_read_b32 v21, a237                               // 0000000038D8: D3D84015 180001ED
	v_pk_mul_f32 v[20:21], v[22:23], v[20:21]                  // 0000000038E0: D3B14014 18022916
	v_accvgpr_write_b32 a236, v20                              // 0000000038E8: D3D940EC 18000114
	v_accvgpr_write_b32 a237, v21                              // 0000000038F0: D3D940ED 18000115
	v_accvgpr_read_b32 v20, a238                               // 0000000038F8: D3D84014 180001EE
	v_accvgpr_read_b32 v21, a239                               // 000000003900: D3D84015 180001EF
	v_pk_mul_f32 v[20:21], v[22:23], v[20:21]                  // 000000003908: D3B14014 18022916
	v_accvgpr_write_b32 a238, v20                              // 000000003910: D3D940EE 18000114
	v_accvgpr_write_b32 a239, v21                              // 000000003918: D3D940EF 18000115
	v_accvgpr_read_b32 v20, a240                               // 000000003920: D3D84014 180001F0
	v_accvgpr_read_b32 v21, a241                               // 000000003928: D3D84015 180001F1
	v_pk_mul_f32 v[20:21], v[22:23], v[20:21]                  // 000000003930: D3B14014 18022916
	v_accvgpr_write_b32 a240, v20                              // 000000003938: D3D940F0 18000114
	v_accvgpr_write_b32 a241, v21                              // 000000003940: D3D940F1 18000115
	v_accvgpr_read_b32 v20, a242                               // 000000003948: D3D84014 180001F2
	v_accvgpr_read_b32 v21, a243                               // 000000003950: D3D84015 180001F3
	v_pk_mul_f32 v[20:21], v[22:23], v[20:21]                  // 000000003958: D3B14014 18022916
	v_accvgpr_write_b32 a242, v20                              // 000000003960: D3D940F2 18000114
	v_accvgpr_write_b32 a243, v21                              // 000000003968: D3D940F3 18000115
	v_accvgpr_read_b32 v20, a244                               // 000000003970: D3D84014 180001F4
	v_accvgpr_read_b32 v21, a245                               // 000000003978: D3D84015 180001F5
	v_pk_mul_f32 v[20:21], v[22:23], v[20:21]                  // 000000003980: D3B14014 18022916
	v_accvgpr_write_b32 a244, v20                              // 000000003988: D3D940F4 18000114
	v_accvgpr_write_b32 a245, v21                              // 000000003990: D3D940F5 18000115
	v_accvgpr_read_b32 v20, a246                               // 000000003998: D3D84014 180001F6
	v_accvgpr_read_b32 v21, a247                               // 0000000039A0: D3D84015 180001F7
	v_pk_mul_f32 v[20:21], v[22:23], v[20:21]                  // 0000000039A8: D3B14014 18022916
	v_accvgpr_write_b32 a246, v20                              // 0000000039B0: D3D940F6 18000114
	v_accvgpr_write_b32 a247, v21                              // 0000000039B8: D3D940F7 18000115
	v_accvgpr_read_b32 v20, a248                               // 0000000039C0: D3D84014 180001F8
	v_accvgpr_read_b32 v21, a249                               // 0000000039C8: D3D84015 180001F9
	v_pk_mul_f32 v[20:21], v[22:23], v[20:21]                  // 0000000039D0: D3B14014 18022916
	v_accvgpr_write_b32 a248, v20                              // 0000000039D8: D3D940F8 18000114
	v_accvgpr_write_b32 a249, v21                              // 0000000039E0: D3D940F9 18000115
	v_accvgpr_read_b32 v20, a250                               // 0000000039E8: D3D84014 180001FA
	v_accvgpr_read_b32 v21, a251                               // 0000000039F0: D3D84015 180001FB
	v_pk_mul_f32 v[20:21], v[22:23], v[20:21]                  // 0000000039F8: D3B14014 18022916
	v_accvgpr_write_b32 a250, v20                              // 000000003A00: D3D940FA 18000114
	v_accvgpr_write_b32 a251, v21                              // 000000003A08: D3D940FB 18000115
	v_accvgpr_read_b32 v20, a252                               // 000000003A10: D3D84014 180001FC
	v_accvgpr_read_b32 v21, a253                               // 000000003A18: D3D84015 180001FD
	v_pk_mul_f32 v[20:21], v[22:23], v[20:21]                  // 000000003A20: D3B14014 18022916
	v_accvgpr_write_b32 a252, v20                              // 000000003A28: D3D940FC 18000114
	v_accvgpr_write_b32 a253, v21                              // 000000003A30: D3D940FD 18000115
	v_accvgpr_read_b32 v20, a254                               // 000000003A38: D3D84014 180001FE
	v_accvgpr_read_b32 v21, a255                               // 000000003A40: D3D84015 180001FF
	v_pk_mul_f32 v[20:21], v[22:23], v[20:21]                  // 000000003A48: D3B14014 18022916
	v_accvgpr_write_b32 a254, v20                              // 000000003A50: D3D940FE 18000114
	v_accvgpr_write_b32 a255, v21                              // 000000003A58: D3D940FF 18000115
	s_waitcnt vmcnt(18) lgkmcnt(0)                             // 000000003A60: BF8C4072
	s_barrier                                                  // 000000003A64: BF8A0000
	v_mfma_f32_16x16x16_bf16 v[148:151], a[144:145], v[36:37], v[148:151]// 000000003A68: D3E10094 0E524990
	v_mfma_f32_16x16x16_bf16 v[152:155], a[146:147], v[36:37], v[152:155]// 000000003A70: D3E10098 0E624992
	ds_read_b64 v[20:21], v5 offset:18560                      // 000000003A78: D8EC4880 14000005
	ds_read_b64 v[22:23], v5 offset:23200                      // 000000003A80: D8EC5AA0 16000005
	ds_read_b64 v[24:25], v5 offset:27840                      // 000000003A88: D8EC6CC0 18000005
	ds_read_b64 v[26:27], v5 offset:32480                      // 000000003A90: D8EC7EE0 1A000005
	v_mfma_f32_16x16x16_bf16 v[156:159], a[148:149], v[36:37], v[156:159]// 000000003A98: D3E1009C 0E724994
	v_mfma_f32_16x16x16_bf16 v[160:163], a[150:151], v[36:37], v[160:163]// 000000003AA0: D3E100A0 0E824996
	v_mfma_f32_16x16x16_bf16 v[164:167], a[152:153], v[36:37], v[164:167]// 000000003AA8: D3E100A4 0E924998
	v_mfma_f32_16x16x16_bf16 v[168:171], a[154:155], v[36:37], v[168:171]// 000000003AB0: D3E100A8 0EA2499A
	ds_read_b128 a[144:147], v4 offset:18560                   // 000000003AB8: DBFE4880 90000004
	ds_read_b128 a[148:151], v4 offset:18624                   // 000000003AC0: DBFE48C0 94000004
	v_mfma_f32_16x16x16_bf16 v[172:175], a[156:157], v[36:37], v[172:175]// 000000003AC8: D3E100AC 0EB2499C
	v_mfma_f32_16x16x16_bf16 v[176:179], a[158:159], v[36:37], v[176:179]// 000000003AD0: D3E100B0 0EC2499E
	s_waitcnt lgkmcnt(2)                                       // 000000003AD8: BF8CC27F
	v_perm_b32 v28, v22, v20, s53                              // 000000003ADC: D1ED001C 00D62916
	v_perm_b32 v30, v22, v20, s52                              // 000000003AE4: D1ED001E 00D22916
	v_perm_b32 v29, v26, v24, s53                              // 000000003AEC: D1ED001D 00D6311A
	v_perm_b32 v31, v26, v24, s52                              // 000000003AF4: D1ED001F 00D2311A
	v_mfma_f32_16x16x16_bf16 v[180:183], a[160:161], v[36:37], v[180:183]// 000000003AFC: D3E100B4 0ED249A0
	v_mfma_f32_16x16x16_bf16 v[184:187], a[162:163], v[36:37], v[184:187]// 000000003B04: D3E100B8 0EE249A2
	ds_write_b128 v6, v[28:31] offset:37120                    // 000000003B0C: D9BE9100 00001C06
	v_mfma_f32_16x16x16_bf16 v[188:191], a[164:165], v[36:37], v[188:191]// 000000003B14: D3E100BC 0EF249A4
	v_mfma_f32_16x16x16_bf16 v[192:195], a[166:167], v[36:37], v[192:195]// 000000003B1C: D3E100C0 0F0249A6
	v_perm_b32 v28, v23, v21, s53                              // 000000003B24: D1ED001C 00D62B17
	v_perm_b32 v30, v23, v21, s52                              // 000000003B2C: D1ED001E 00D22B17
	v_perm_b32 v29, v27, v25, s53                              // 000000003B34: D1ED001D 00D6331B
	v_perm_b32 v31, v27, v25, s52                              // 000000003B3C: D1ED001F 00D2331B
	v_mfma_f32_16x16x16_bf16 v[196:199], a[168:169], v[36:37], v[196:199]// 000000003B44: D3E100C4 0F1249A8
	v_mfma_f32_16x16x16_bf16 v[200:203], a[170:171], v[36:37], v[200:203]// 000000003B4C: D3E100C8 0F2249AA
	ds_write_b128 v6, v[28:31] offset:38144                    // 000000003B54: D9BE9500 00001C06
	v_mfma_f32_16x16x16_bf16 v[204:207], a[172:173], v[36:37], v[204:207]// 000000003B5C: D3E100CC 0F3249AC
	v_mfma_f32_16x16x16_bf16 v[208:211], a[174:175], v[36:37], v[208:211]// 000000003B64: D3E100D0 0F4249AE
	v_mfma_f32_16x16x16_bf16 v[212:215], a[176:177], v[36:37], v[212:215]// 000000003B6C: D3E100D4 0F5249B0
	v_mfma_f32_16x16x16_bf16 v[216:219], a[178:179], v[36:37], v[216:219]// 000000003B74: D3E100D8 0F6249B2
	ds_read_b64 v[20:21], v5 offset:19584                      // 000000003B7C: D8EC4C80 14000005
	ds_read_b64 v[22:23], v5 offset:24224                      // 000000003B84: D8EC5EA0 16000005
	v_mfma_f32_16x16x16_bf16 v[220:223], a[180:181], v[36:37], v[220:223]// 000000003B8C: D3E100DC 0F7249B4
	v_mfma_f32_16x16x16_bf16 v[224:227], a[182:183], v[36:37], v[224:227]// 000000003B94: D3E100E0 0F8249B6
	ds_read_b64 v[24:25], v5 offset:28864                      // 000000003B9C: D8EC70C0 18000005
	ds_read_b64 v[26:27], v5 offset:33504                      // 000000003BA4: D8EC82E0 1A000005
	v_mfma_f32_16x16x16_bf16 v[228:231], a[184:185], v[36:37], v[228:231]// 000000003BAC: D3E100E4 0F9249B8
	v_mfma_f32_16x16x16_bf16 v[232:235], a[186:187], v[36:37], v[232:235]// 000000003BB4: D3E100E8 0FA249BA
	ds_read_b128 a[152:155], v4 offset:18816                   // 000000003BBC: DBFE4980 98000004
	ds_read_b128 a[156:159], v4 offset:18880                   // 000000003BC4: DBFE49C0 9C000004
	v_mfma_f32_16x16x16_bf16 v[236:239], a[188:189], v[36:37], v[236:239]// 000000003BCC: D3E100EC 0FB249BC
	v_mfma_f32_16x16x16_bf16 v[240:243], a[190:191], v[36:37], v[240:243]// 000000003BD4: D3E100F0 0FC249BE
	v_mfma_f32_16x16x16_bf16 v[244:247], a[192:193], v[36:37], v[244:247]// 000000003BDC: D3E100F4 0FD249C0
	v_mfma_f32_16x16x16_bf16 v[248:251], a[194:195], v[36:37], v[248:251]// 000000003BE4: D3E100F8 0FE249C2
	ds_read_b128 a[160:163], v4 offset:19072                   // 000000003BEC: DBFE4A80 A0000004
	ds_read_b128 a[164:167], v4 offset:19136                   // 000000003BF4: DBFE4AC0 A4000004
	v_mfma_f32_16x16x16_bf16 v[252:255], a[196:197], v[36:37], v[252:255]// 000000003BFC: D3E100FC 0FF249C4
	v_mfma_f32_16x16x16_bf16 a[236:239], a[198:199], v[36:37], a[236:239]// 000000003C04: D3E180EC 0FB249C6
	v_mfma_f32_16x16x16_bf16 a[240:243], a[200:201], v[36:37], a[240:243]// 000000003C0C: D3E180F0 0FC249C8
	v_mfma_f32_16x16x16_bf16 a[244:247], a[202:203], v[36:37], a[244:247]// 000000003C14: D3E180F4 0FD249CA
	ds_read_b128 a[168:171], v4 offset:19328                   // 000000003C1C: DBFE4B80 A8000004
	ds_read_b128 a[172:175], v4 offset:19392                   // 000000003C24: DBFE4BC0 AC000004
	v_mfma_f32_16x16x16_bf16 a[248:251], a[204:205], v[36:37], a[248:251]// 000000003C2C: D3E180F8 0FE249CC
	v_mfma_f32_16x16x16_bf16 a[252:255], a[206:207], v[36:37], a[252:255]// 000000003C34: D3E180FC 0FF249CE
	s_nop 0                                                    // 000000003C3C: BF800000
	s_addk_i32 s70, 0x1                                        // 000000003C40: B7460001
	s_cmp_lt_i32 s70, s71                                      // 000000003C44: BF044746
	s_cbranch_scc0 label_0F9A                                  // 000000003C48: BF840487
	s_waitcnt lgkmcnt(4)                                       // 000000003C4C: BF8CC47F
	v_mfma_f32_16x16x16_bf16 v[32:35], a[144:145], a[0:1], 0   // 000000003C50: D3E10020 1A020190
	ds_read_b128 a[176:179], v4 offset:19584                   // 000000003C58: DBFE4C80 B0000004
	ds_read_b128 a[180:183], v4 offset:19648                   // 000000003C60: DBFE4CC0 B4000004
	v_mfma_f32_16x16x16_bf16 v[32:35], a[146:147], a[2:3], v[32:35]// 000000003C68: D3E10020 1C820592
	buffer_load_dword v11, v8, s[24:27], 0 offen               // 000000003C70: E0501000 80060B08
	v_mfma_f32_16x16x16_bf16 v[32:35], a[148:149], a[4:5], v[32:35]// 000000003C78: D3E10020 1C820994
	v_mfma_f32_16x16x16_bf16 v[32:35], a[150:151], a[6:7], v[32:35]// 000000003C80: D3E10020 1C820D96
	v_mfma_f32_16x16x16_bf16 v[32:35], a[152:153], a[8:9], v[32:35]// 000000003C88: D3E10020 1C821198
	ds_read_b128 a[184:187], v4 offset:19840                   // 000000003C90: DBFE4D80 B8000004
	ds_read_b128 a[188:191], v4 offset:19904                   // 000000003C98: DBFE4DC0 BC000004
	v_mfma_f32_16x16x16_bf16 v[32:35], a[154:155], a[10:11], v[32:35]// 000000003CA0: D3E10020 1C82159A
	v_mfma_f32_16x16x16_bf16 v[32:35], a[156:157], a[12:13], v[32:35]// 000000003CA8: D3E10020 1C82199C
	v_mfma_f32_16x16x16_bf16 v[32:35], a[158:159], a[14:15], v[32:35]// 000000003CB0: D3E10020 1C821D9E
	s_waitcnt lgkmcnt(4)                                       // 000000003CB8: BF8CC47F
	v_mfma_f32_16x16x16_bf16 v[32:35], a[160:161], a[16:17], v[32:35]// 000000003CBC: D3E10020 1C8221A0
	ds_read_b128 a[192:195], v4 offset:20096                   // 000000003CC4: DBFE4E80 C0000004
	ds_read_b128 a[196:199], v4 offset:20160                   // 000000003CCC: DBFE4EC0 C4000004
	v_mfma_f32_16x16x16_bf16 v[32:35], a[162:163], a[18:19], v[32:35]// 000000003CD4: D3E10020 1C8225A2
	v_mfma_f32_16x16x16_bf16 v[32:35], a[164:165], a[20:21], v[32:35]// 000000003CDC: D3E10020 1C8229A4
	v_mfma_f32_16x16x16_bf16 v[32:35], a[166:167], a[22:23], v[32:35]// 000000003CE4: D3E10020 1C822DA6
	v_mfma_f32_16x16x16_bf16 v[32:35], a[168:169], a[24:25], v[32:35]// 000000003CEC: D3E10020 1C8231A8
	ds_read_b128 a[200:203], v4 offset:20352                   // 000000003CF4: DBFE4F80 C8000004
	ds_read_b128 a[204:207], v4 offset:20416                   // 000000003CFC: DBFE4FC0 CC000004
	v_mfma_f32_16x16x16_bf16 v[32:35], a[170:171], a[26:27], v[32:35]// 000000003D04: D3E10020 1C8235AA
	v_mfma_f32_16x16x16_bf16 v[32:35], a[172:173], a[28:29], v[32:35]// 000000003D0C: D3E10020 1C8239AC
	v_mfma_f32_16x16x16_bf16 v[32:35], a[174:175], a[30:31], v[32:35]// 000000003D14: D3E10020 1C823DAE
	s_waitcnt lgkmcnt(4)                                       // 000000003D1C: BF8CC47F
	s_barrier                                                  // 000000003D20: BF8A0000
	v_mfma_f32_16x16x16_bf16 v[32:35], a[176:177], a[32:33], v[32:35]// 000000003D24: D3E10020 1C8241B0
	ds_read_b128 a[208:211], v4 offset:20608                   // 000000003D2C: DBFE5080 D0000004
	ds_read_b128 a[212:215], v4 offset:20672                   // 000000003D34: DBFE50C0 D4000004
	v_mfma_f32_16x16x16_bf16 v[32:35], a[178:179], a[34:35], v[32:35]// 000000003D3C: D3E10020 1C8245B2
	v_mfma_f32_16x16x16_bf16 v[32:35], a[180:181], a[36:37], v[32:35]// 000000003D44: D3E10020 1C8249B4
	v_perm_b32 v28, v22, v20, s53                              // 000000003D4C: D1ED001C 00D62916
	v_perm_b32 v30, v22, v20, s52                              // 000000003D54: D1ED001E 00D22916
	v_perm_b32 v29, v26, v24, s53                              // 000000003D5C: D1ED001D 00D6311A
	v_perm_b32 v31, v26, v24, s52                              // 000000003D64: D1ED001F 00D2311A
	v_mfma_f32_16x16x16_bf16 v[32:35], a[182:183], a[38:39], v[32:35]// 000000003D6C: D3E10020 1C824DB6
	buffer_load_dword v18, s[20:23], 0 offen lds               // 000000003D74: E0511000 80050012
	s_add_u32 m0, 0, s37                                       // 000000003D7C: 807C2580
	v_mfma_f32_16x16x16_bf16 v[32:35], a[184:185], a[40:41], v[32:35]// 000000003D80: D3E10020 1C8251B8
	ds_write_b128 v6, v[28:31] offset:45312                    // 000000003D88: D9BEB100 00001C06
	v_mfma_f32_16x16x16_bf16 v[32:35], a[186:187], a[42:43], v[32:35]// 000000003D90: D3E10020 1C8255BA
	buffer_load_dword v19, s[20:23], 0 offen lds               // 000000003D98: E0511000 80050013
	s_add_u32 m0, 0x80, s36                                    // 000000003DA0: 807C24FF 00000080
	v_mfma_f32_16x16x16_bf16 v[32:35], a[188:189], a[44:45], v[32:35]// 000000003DA8: D3E10020 1C8259BC
	v_perm_b32 v28, v23, v21, s53                              // 000000003DB0: D1ED001C 00D62B17
	v_perm_b32 v30, v23, v21, s52                              // 000000003DB8: D1ED001E 00D22B17
	v_perm_b32 v29, v27, v25, s53                              // 000000003DC0: D1ED001D 00D6331B
	v_perm_b32 v31, v27, v25, s52                              // 000000003DC8: D1ED001F 00D2331B
	v_mfma_f32_16x16x16_bf16 v[32:35], a[190:191], a[46:47], v[32:35]// 000000003DD0: D3E10020 1C825DBE
	buffer_load_dword v18, s[20:23], 0 offen offset:128 lds    // 000000003DD8: E0511080 80050012
	s_add_u32 m0, 0x80, s37                                    // 000000003DE0: 807C25FF 00000080
	s_waitcnt lgkmcnt(1)                                       // 000000003DE8: BF8CC17F
	v_mfma_f32_16x16x16_bf16 v[32:35], a[192:193], a[48:49], v[32:35]// 000000003DEC: D3E10020 1C8261C0
	ds_write_b128 v6, v[28:31] offset:46336                    // 000000003DF4: D9BEB500 00001C06
	v_mfma_f32_16x16x16_bf16 v[32:35], a[194:195], a[50:51], v[32:35]// 000000003DFC: D3E10020 1C8265C2
	buffer_load_dword v19, s[20:23], 0 offen offset:128 lds    // 000000003E04: E0511080 80050013
	s_add_u32 m0, 0x100, s36                                   // 000000003E0C: 807C24FF 00000100
	v_mfma_f32_16x16x16_bf16 v[32:35], a[196:197], a[52:53], v[32:35]// 000000003E14: D3E10020 1C8269C4
	v_mfma_f32_16x16x16_bf16 v[32:35], a[198:199], a[54:55], v[32:35]// 000000003E1C: D3E10020 1C826DC6
	buffer_load_dword v18, s[20:23], 0 offen offset:256 lds    // 000000003E24: E0511100 80050012
	s_add_u32 m0, 0x100, s37                                   // 000000003E2C: 807C25FF 00000100
	v_mfma_f32_16x16x16_bf16 v[32:35], a[200:201], a[56:57], v[32:35]// 000000003E34: D3E10020 1C8271C8
	v_mfma_f32_16x16x16_bf16 v[32:35], a[202:203], a[58:59], v[32:35]// 000000003E3C: D3E10020 1C8275CA
	buffer_load_dword v19, s[20:23], 0 offen offset:256 lds    // 000000003E44: E0511100 80050013
	s_add_u32 m0, 0x180, s36                                   // 000000003E4C: 807C24FF 00000180
	v_mfma_f32_16x16x16_bf16 v[32:35], a[204:205], a[60:61], v[32:35]// 000000003E54: D3E10020 1C8279CC
	v_mfma_f32_16x16x16_bf16 v[32:35], a[206:207], a[62:63], v[32:35]// 000000003E5C: D3E10020 1C827DCE
	buffer_load_dword v18, s[20:23], 0 offen offset:384 lds    // 000000003E64: E0511180 80050012
	s_add_u32 m0, 0x180, s37                                   // 000000003E6C: 807C25FF 00000180
	v_mfma_f32_16x16x16_bf16 v[32:35], a[208:209], a[64:65], v[32:35]// 000000003E74: D3E10020 1C8281D0
	v_mfma_f32_16x16x16_bf16 v[32:35], a[210:211], a[66:67], v[32:35]// 000000003E7C: D3E10020 1C8285D2
	buffer_load_dword v19, s[20:23], 0 offen offset:384 lds    // 000000003E84: E0511180 80050013
	s_add_u32 m0, 0x200, s36                                   // 000000003E8C: 807C24FF 00000200
	v_mfma_f32_16x16x16_bf16 v[32:35], a[212:213], a[68:69], v[32:35]// 000000003E94: D3E10020 1C8289D4
	v_mfma_f32_16x16x16_bf16 v[32:35], a[214:215], a[70:71], v[32:35]// 000000003E9C: D3E10020 1C828DD6
	buffer_load_dword v18, s[20:23], 0 offen offset:512 lds    // 000000003EA4: E0511200 80050012
	s_add_u32 m0, 0x200, s37                                   // 000000003EAC: 807C25FF 00000200
	v_add_u32_e32 v8, s73, v8                                  // 000000003EB4: 68101049
	s_cmp_le_i32 s83, s82                                      // 000000003EB8: BF055253
	s_cbranch_scc1 label_0BD2                                  // 000000003EBC: BF850022
	v_mov_b32_e32 v25, 0xff800000                              // 000000003EC0: 7E3202FF FF800000
	v_mov_b32_e32 v24, s82                                     // 000000003EC8: 7E300252
	s_sub_u32 s56, s83, 15                                     // 000000003ECC: 80B88F53
	v_lshrrev_b32_e32 v20, 4, v0                               // 000000003ED0: 20280084
	v_mul_i32_i24_e32 v20, 4, v20                              // 000000003ED4: 0C282884
	v_add_u32_e32 v20, s56, v20                                // 000000003ED8: 68282838
	v_add_u32_e32 v21, 1, v20                                  // 000000003EDC: 682A2881
	v_add_u32_e32 v22, 2, v20                                  // 000000003EE0: 682C2882
	v_add_u32_e32 v23, 3, v20                                  // 000000003EE4: 682E2883
	v_cmp_le_u32_e64 s[38:39], v20, v24                        // 000000003EE8: D0CB0026 00023114
	v_add_u32_e32 v20, 64, v20                                 // 000000003EF0: 682828C0
	s_nop 0                                                    // 000000003EF4: BF800000
	v_cndmask_b32_e64 v32, v25, v32, s[38:39]                  // 000000003EF8: D1000020 009A4119
	v_cmp_le_u32_e64 s[38:39], v21, v24                        // 000000003F00: D0CB0026 00023115
	v_add_u32_e32 v21, 64, v21                                 // 000000003F08: 682A2AC0
	s_nop 0                                                    // 000000003F0C: BF800000
	v_cndmask_b32_e64 v33, v25, v33, s[38:39]                  // 000000003F10: D1000021 009A4319
	v_cmp_le_u32_e64 s[38:39], v22, v24                        // 000000003F18: D0CB0026 00023116
	v_add_u32_e32 v22, 64, v22                                 // 000000003F20: 682C2CC0
	s_nop 0                                                    // 000000003F24: BF800000
	v_cndmask_b32_e64 v34, v25, v34, s[38:39]                  // 000000003F28: D1000022 009A4519
	v_cmp_le_u32_e64 s[38:39], v23, v24                        // 000000003F30: D0CB0026 00023117
	v_add_u32_e32 v23, 64, v23                                 // 000000003F38: 682E2EC0
	s_nop 0                                                    // 000000003F3C: BF800000
	v_cndmask_b32_e64 v35, v25, v35, s[38:39]                  // 000000003F40: D1000023 009A4719

0000000000003f48 <label_0BD2>:
	s_waitcnt lgkmcnt(0)                                       // 000000003F48: BF8CC07F
	s_barrier                                                  // 000000003F4C: BF8A0000
	v_mfma_f32_16x16x16_bf16 v[36:39], a[144:145], a[72:73], 0 // 000000003F50: D3E10024 1A029190
	v_mfma_f32_16x16x16_bf16 v[36:39], a[146:147], a[74:75], v[36:39]// 000000003F58: D3E10024 1C929592
	v_max3_f32 v24, v32, v33, v32                              // 000000003F60: D1D30018 04824320
	v_max3_f32 v24, v34, v35, v24                              // 000000003F68: D1D30018 04624722
	ds_write_b32 v3, v24 offset:53504                          // 000000003F70: D81AD100 00001803
	v_mfma_f32_16x16x16_bf16 v[36:39], a[148:149], a[76:77], v[36:39]// 000000003F78: D3E10024 1C929994
	v_mfma_f32_16x16x16_bf16 v[36:39], a[150:151], a[78:79], v[36:39]// 000000003F80: D3E10024 1C929D96
	buffer_load_dword v19, s[20:23], 0 offen offset:512 lds    // 000000003F88: E0511200 80050013
	s_add_u32 m0, 0x280, s36                                   // 000000003F90: 807C24FF 00000280
	v_mfma_f32_16x16x16_bf16 v[36:39], a[152:153], a[80:81], v[36:39]// 000000003F98: D3E10024 1C92A198
	v_mfma_f32_16x16x16_bf16 v[36:39], a[154:155], a[82:83], v[36:39]// 000000003FA0: D3E10024 1C92A59A
	buffer_load_dword v18, s[20:23], 0 offen offset:640 lds    // 000000003FA8: E0511280 80050012
	s_add_u32 m0, 0x280, s37                                   // 000000003FB0: 807C25FF 00000280
	v_mfma_f32_16x16x16_bf16 v[36:39], a[156:157], a[84:85], v[36:39]// 000000003FB8: D3E10024 1C92A99C
	s_waitcnt lgkmcnt(0)                                       // 000000003FC0: BF8CC07F
	ds_read_b32 v20, v2 offset:53504                           // 000000003FC4: D86CD100 14000002
	ds_read_b32 v21, v2 offset:53568                           // 000000003FCC: D86CD140 15000002
	v_mfma_f32_16x16x16_bf16 v[36:39], a[158:159], a[86:87], v[36:39]// 000000003FD4: D3E10024 1C92AD9E
	ds_read_b32 v22, v2 offset:53632                           // 000000003FDC: D86CD180 16000002
	ds_read_b32 v23, v2 offset:53696                           // 000000003FE4: D86CD1C0 17000002
	v_mfma_f32_16x16x16_bf16 v[36:39], a[160:161], a[88:89], v[36:39]// 000000003FEC: D3E10024 1C92B1A0
	v_mfma_f32_16x16x16_bf16 v[36:39], a[162:163], a[90:91], v[36:39]// 000000003FF4: D3E10024 1C92B5A2
	buffer_load_dword v19, s[20:23], 0 offen offset:640 lds    // 000000003FFC: E0511280 80050013
	s_add_u32 m0, 0x300, s36                                   // 000000004004: 807C24FF 00000300
	v_mfma_f32_16x16x16_bf16 v[36:39], a[164:165], a[92:93], v[36:39]// 00000000400C: D3E10024 1C92B9A4
	v_mfma_f32_16x16x16_bf16 v[36:39], a[166:167], a[94:95], v[36:39]// 000000004014: D3E10024 1C92BDA6
	buffer_load_dword v18, s[20:23], 0 offen offset:768 lds    // 00000000401C: E0511300 80050012
	s_add_u32 m0, 0x300, s37                                   // 000000004024: 807C25FF 00000300
	v_mfma_f32_16x16x16_bf16 v[36:39], a[168:169], a[96:97], v[36:39]// 00000000402C: D3E10024 1C92C1A8
	v_mfma_f32_16x16x16_bf16 v[36:39], a[170:171], a[98:99], v[36:39]// 000000004034: D3E10024 1C92C5AA
	buffer_load_dword v19, s[20:23], 0 offen offset:768 lds    // 00000000403C: E0511300 80050013
	s_add_u32 m0, 0x380, s36                                   // 000000004044: 807C24FF 00000380
	v_mfma_f32_16x16x16_bf16 v[36:39], a[172:173], a[100:101], v[36:39]// 00000000404C: D3E10024 1C92C9AC
	s_waitcnt lgkmcnt(0)                                       // 000000004054: BF8CC07F
	v_max3_f32 v24, v20, v21, v24                              // 000000004058: D1D30018 04622B14
	v_max3_f32 v24, v22, v23, v24                              // 000000004060: D1D30018 04622F16
	v_mfma_f32_16x16x16_bf16 v[36:39], a[174:175], a[102:103], v[36:39]// 000000004068: D3E10024 1C92CDAE
	v_mfma_f32_16x16x16_bf16 v[36:39], a[176:177], a[104:105], v[36:39]// 000000004070: D3E10024 1C92D1B0
	v_mfma_f32_16x16x16_bf16 v[36:39], a[178:179], a[106:107], v[36:39]// 000000004078: D3E10024 1C92D5B2
	buffer_load_dword v18, s[20:23], 0 offen offset:896 lds    // 000000004080: E0511380 80050012
	s_add_u32 m0, 0x380, s37                                   // 000000004088: 807C25FF 00000380
	v_mfma_f32_16x16x16_bf16 v[36:39], a[180:181], a[108:109], v[36:39]// 000000004090: D3E10024 1C92D9B4
	v_mfma_f32_16x16x16_bf16 v[36:39], a[182:183], a[110:111], v[36:39]// 000000004098: D3E10024 1C92DDB6
	buffer_load_dword v19, s[20:23], 0 offen offset:896 lds    // 0000000040A0: E0511380 80050013
	s_add_u32 m0, 0x400, s36                                   // 0000000040A8: 807C24FF 00000400
	v_mfma_f32_16x16x16_bf16 v[36:39], a[184:185], a[112:113], v[36:39]// 0000000040B0: D3E10024 1C92E1B8
	ds_read_b128 a[144:147], v7 offset:37120                   // 0000000040B8: DBFE9100 90000007
	ds_read_b128 a[148:151], v7 offset:38144                   // 0000000040C0: DBFE9500 94000007
	v_mfma_f32_16x16x16_bf16 v[36:39], a[186:187], a[114:115], v[36:39]// 0000000040C8: D3E10024 1C92E5BA
	buffer_load_dword v18, s[20:23], 0 offen offset:1024 lds   // 0000000040D0: E0511400 80050012
	s_add_u32 m0, 0x400, s37                                   // 0000000040D8: 807C25FF 00000400
	v_mfma_f32_16x16x16_bf16 v[36:39], a[188:189], a[116:117], v[36:39]// 0000000040E0: D3E10024 1C92E9BC
	v_mfma_f32_16x16x16_bf16 v[36:39], a[190:191], a[118:119], v[36:39]// 0000000040E8: D3E10024 1C92EDBE
	v_mfma_f32_16x16x16_bf16 v[36:39], a[192:193], a[120:121], v[36:39]// 0000000040F0: D3E10024 1C92F1C0
	ds_read_b128 a[152:155], v7 offset:39168                   // 0000000040F8: DBFE9900 98000007
	ds_read_b128 a[156:159], v7 offset:40192                   // 000000004100: DBFE9D00 9C000007
	v_mfma_f32_16x16x16_bf16 v[36:39], a[194:195], a[122:123], v[36:39]// 000000004108: D3E10024 1C92F5C2
	buffer_load_dword v19, s[20:23], 0 offen offset:1024 lds   // 000000004110: E0511400 80050013
	s_add_u32 m0, 0x480, s36                                   // 000000004118: 807C24FF 00000480
	v_mfma_f32_16x16x16_bf16 v[36:39], a[196:197], a[124:125], v[36:39]// 000000004120: D3E10024 1C92F9C4
	v_mfma_f32_16x16x16_bf16 v[36:39], a[198:199], a[126:127], v[36:39]// 000000004128: D3E10024 1C92FDC6
	v_mfma_f32_16x16x16_bf16 v[36:39], a[200:201], a[128:129], v[36:39]// 000000004130: D3E10024 1C9301C8
	ds_read_b128 a[160:163], v7 offset:41216                   // 000000004138: DBFEA100 A0000007
	ds_read_b128 a[164:167], v7 offset:42240                   // 000000004140: DBFEA500 A4000007
	v_mfma_f32_16x16x16_bf16 v[36:39], a[202:203], a[130:131], v[36:39]// 000000004148: D3E10024 1C9305CA
	v_mfma_f32_16x16x16_bf16 v[36:39], a[204:205], a[132:133], v[36:39]// 000000004150: D3E10024 1C9309CC
	v_mfma_f32_16x16x16_bf16 v[36:39], a[206:207], a[134:135], v[36:39]// 000000004158: D3E10024 1C930DCE
	v_mfma_f32_16x16x16_bf16 v[36:39], a[208:209], a[136:137], v[36:39]// 000000004160: D3E10024 1C9311D0
	ds_read_b128 a[168:171], v7 offset:43264                   // 000000004168: DBFEA900 A8000007
	ds_read_b128 a[172:175], v7 offset:44288                   // 000000004170: DBFEAD00 AC000007
	v_mfma_f32_16x16x16_bf16 v[36:39], a[210:211], a[138:139], v[36:39]// 000000004178: D3E10024 1C9315D2
	v_mfma_f32_16x16x16_bf16 v[36:39], a[212:213], a[140:141], v[36:39]// 000000004180: D3E10024 1C9319D4
	v_mfma_f32_16x16x16_bf16 v[36:39], a[214:215], a[142:143], v[36:39]// 000000004188: D3E10024 1C931DD6
	v_mov_b32_e32 v25, 0xff7fffff                              // 000000004190: 7E3202FF FF7FFFFF
	v_cmp_eq_u32_e64 s[38:39], v25, v12                        // 000000004198: D0CA0026 00021919
	v_max_f32_e32 v20, v24, v12                                // 0000000041A0: 16281918
	v_sub_f32_e32 v16, v12, v20                                // 0000000041A4: 0420290C
	v_cndmask_b32_e64 v16, v16, 0, s[38:39]                    // 0000000041A8: D1000010 00990110
	v_mov_b32_e32 v12, v20                                     // 0000000041B0: 7E180314
	v_mul_f32_e32 v21, s5, v20                                 // 0000000041B4: 0A2A2805
	v_mul_f32_e32 v16, s5, v16                                 // 0000000041B8: 0A202005
	v_exp_f32_e32 v16, v16                                     // 0000000041BC: 7E204110
	v_fma_f32 v32, v32, s5, -v21                               // 0000000041C0: D1CB0020 84540B20
	v_fma_f32 v33, v33, s5, -v21                               // 0000000041C8: D1CB0021 84540B21
	v_fma_f32 v34, v34, s5, -v21                               // 0000000041D0: D1CB0022 84540B22
	v_fma_f32 v35, v35, s5, -v21                               // 0000000041D8: D1CB0023 84540B23
	v_exp_f32_e32 v32, v32                                     // 0000000041E0: 7E404120
	v_exp_f32_e32 v33, v33                                     // 0000000041E4: 7E424121
	v_exp_f32_e32 v34, v34                                     // 0000000041E8: 7E444122
	v_exp_f32_e32 v35, v35                                     // 0000000041EC: 7E464123
	v_mul_f32_e32 v14, v16, v14                                // 0000000041F0: 0A1C1D10
	v_mov_b32_e32 v22, v32                                     // 0000000041F4: 7E2C0320
	v_add_f32_e32 v22, v33, v22                                // 0000000041F8: 022C2D21
	v_add_f32_e32 v22, v34, v22                                // 0000000041FC: 022C2D22
	v_add_f32_e32 v22, v35, v22                                // 000000004200: 022C2D23
	v_add_f32_e32 v14, v22, v14                                // 000000004204: 021C1D16
	v_mov_b32_e32 v29, 0xffff0000                              // 000000004208: 7E3A02FF FFFF0000
	v_mov_b32_e32 v30, 0x7fff0000                              // 000000004210: 7E3C02FF 7FFF0000
	v_mov_b32_e32 v31, 0x7fff                                  // 000000004218: 7E3E02FF 00007FFF
	v_cmp_u_f32_e64 s[38:39], v32, v32                         // 000000004220: D0480026 00024120
	v_add3_u32 v28, v32, v31, 1                                // 000000004228: D1FF001C 02063F20
	v_cndmask_b32_e64 v20, v28, v30, s[38:39]                  // 000000004230: D1000014 009A3D1C
	v_cmp_u_f32_e64 s[38:39], v33, v33                         // 000000004238: D0480026 00024321
	v_add3_u32 v28, v33, v31, 1                                // 000000004240: D1FF001C 02063F21
	v_cndmask_b32_e64 v21, v28, v30, s[38:39]                  // 000000004248: D1000015 009A3D1C
	v_perm_b32 v32, v21, v20, s52                              // 000000004250: D1ED0020 00D22915
	v_cmp_u_f32_e64 s[38:39], v34, v34                         // 000000004258: D0480026 00024522
	v_add3_u32 v28, v34, v31, 1                                // 000000004260: D1FF001C 02063F22
	v_cndmask_b32_e64 v20, v28, v30, s[38:39]                  // 000000004268: D1000014 009A3D1C
	v_cmp_u_f32_e64 s[38:39], v35, v35                         // 000000004270: D0480026 00024723
	v_add3_u32 v28, v35, v31, 1                                // 000000004278: D1FF001C 02063F23
	v_cndmask_b32_e64 v21, v28, v30, s[38:39]                  // 000000004280: D1000015 009A3D1C
	v_perm_b32 v33, v21, v20, s52                              // 000000004288: D1ED0021 00D22915
	s_nop 2                                                    // 000000004290: BF800002
	s_cmp_le_i32 s83, s82                                      // 000000004294: BF055253
	s_cbranch_scc1 label_0CC9                                  // 000000004298: BF850022
	v_mov_b32_e32 v25, 0xff800000                              // 00000000429C: 7E3202FF FF800000
	v_mov_b32_e32 v24, s82                                     // 0000000042A4: 7E300252
	s_sub_u32 s56, s83, 15                                     // 0000000042A8: 80B88F53
	v_lshrrev_b32_e32 v20, 4, v0                               // 0000000042AC: 20280084
	v_mul_i32_i24_e32 v20, 4, v20                              // 0000000042B0: 0C282884
	v_add_u32_e32 v20, s56, v20                                // 0000000042B4: 68282838
	v_add_u32_e32 v21, 1, v20                                  // 0000000042B8: 682A2881
	v_add_u32_e32 v22, 2, v20                                  // 0000000042BC: 682C2882
	v_add_u32_e32 v23, 3, v20                                  // 0000000042C0: 682E2883
	v_cmp_le_u32_e64 s[38:39], v20, v24                        // 0000000042C4: D0CB0026 00023114
	v_add_u32_e32 v20, 64, v20                                 // 0000000042CC: 682828C0
	s_nop 0                                                    // 0000000042D0: BF800000
	v_cndmask_b32_e64 v36, v25, v36, s[38:39]                  // 0000000042D4: D1000024 009A4919
	v_cmp_le_u32_e64 s[38:39], v21, v24                        // 0000000042DC: D0CB0026 00023115
	v_add_u32_e32 v21, 64, v21                                 // 0000000042E4: 682A2AC0
	s_nop 0                                                    // 0000000042E8: BF800000
	v_cndmask_b32_e64 v37, v25, v37, s[38:39]                  // 0000000042EC: D1000025 009A4B19
	v_cmp_le_u32_e64 s[38:39], v22, v24                        // 0000000042F4: D0CB0026 00023116
	v_add_u32_e32 v22, 64, v22                                 // 0000000042FC: 682C2CC0
	s_nop 0                                                    // 000000004300: BF800000
	v_cndmask_b32_e64 v38, v25, v38, s[38:39]                  // 000000004304: D1000026 009A4D19
	v_cmp_le_u32_e64 s[38:39], v23, v24                        // 00000000430C: D0CB0026 00023117
	v_add_u32_e32 v23, 64, v23                                 // 000000004314: 682E2EC0
	s_nop 0                                                    // 000000004318: BF800000
	v_cndmask_b32_e64 v39, v25, v39, s[38:39]                  // 00000000431C: D1000027 009A4F19

0000000000004324 <label_0CC9>:
	s_add_u32 s83, s84, s83                                    // 000000004324: 80535354
	s_nop 0                                                    // 000000004328: BF800000
	v_mul_u32_u24_dpp v18, v10, v9 row_newbcast:0 row_mask:0xf bank_mask:0xf// 00000000432C: 102412FA FF01500A
	v_mul_u32_u24_dpp v19, v10, v9 row_newbcast:8 row_mask:0xf bank_mask:0xf// 000000004334: 102612FA FF01580A
	v_add_u32_e32 v18, v18, v1                                 // 00000000433C: 68240312
	v_add_u32_e32 v19, v19, v1                                 // 000000004340: 68260313
	s_mov_b32 m0, s34                                          // 000000004344: BEFC0022
	v_mov_b32_e32 v22, v16                                     // 000000004348: 7E2C0310
	v_mov_b32_e32 v23, v16                                     // 00000000434C: 7E2E0310
	v_pk_mul_f32 v[40:41], v[22:23], v[40:41]                  // 000000004350: D3B14028 18025116
	v_pk_mul_f32 v[42:43], v[22:23], v[42:43]                  // 000000004358: D3B1402A 18025516
	v_pk_mul_f32 v[44:45], v[22:23], v[44:45]                  // 000000004360: D3B1402C 18025916
	v_pk_mul_f32 v[46:47], v[22:23], v[46:47]                  // 000000004368: D3B1402E 18025D16
	v_pk_mul_f32 v[48:49], v[22:23], v[48:49]                  // 000000004370: D3B14030 18026116
	v_pk_mul_f32 v[50:51], v[22:23], v[50:51]                  // 000000004378: D3B14032 18026516
	v_pk_mul_f32 v[52:53], v[22:23], v[52:53]                  // 000000004380: D3B14034 18026916
	v_pk_mul_f32 v[54:55], v[22:23], v[54:55]                  // 000000004388: D3B14036 18026D16
	v_pk_mul_f32 v[56:57], v[22:23], v[56:57]                  // 000000004390: D3B14038 18027116
	v_pk_mul_f32 v[58:59], v[22:23], v[58:59]                  // 000000004398: D3B1403A 18027516
	v_pk_mul_f32 v[60:61], v[22:23], v[60:61]                  // 0000000043A0: D3B1403C 18027916
	v_pk_mul_f32 v[62:63], v[22:23], v[62:63]                  // 0000000043A8: D3B1403E 18027D16
	v_pk_mul_f32 v[64:65], v[22:23], v[64:65]                  // 0000000043B0: D3B14040 18028116
	v_pk_mul_f32 v[66:67], v[22:23], v[66:67]                  // 0000000043B8: D3B14042 18028516
	v_pk_mul_f32 v[68:69], v[22:23], v[68:69]                  // 0000000043C0: D3B14044 18028916
	v_pk_mul_f32 v[70:71], v[22:23], v[70:71]                  // 0000000043C8: D3B14046 18028D16
	v_pk_mul_f32 v[72:73], v[22:23], v[72:73]                  // 0000000043D0: D3B14048 18029116
	v_pk_mul_f32 v[74:75], v[22:23], v[74:75]                  // 0000000043D8: D3B1404A 18029516
	v_pk_mul_f32 v[76:77], v[22:23], v[76:77]                  // 0000000043E0: D3B1404C 18029916
	v_pk_mul_f32 v[78:79], v[22:23], v[78:79]                  // 0000000043E8: D3B1404E 18029D16
	v_pk_mul_f32 v[80:81], v[22:23], v[80:81]                  // 0000000043F0: D3B14050 1802A116
	v_pk_mul_f32 v[82:83], v[22:23], v[82:83]                  // 0000000043F8: D3B14052 1802A516
	v_pk_mul_f32 v[84:85], v[22:23], v[84:85]                  // 000000004400: D3B14054 1802A916
	v_pk_mul_f32 v[86:87], v[22:23], v[86:87]                  // 000000004408: D3B14056 1802AD16
	v_pk_mul_f32 v[88:89], v[22:23], v[88:89]                  // 000000004410: D3B14058 1802B116
	v_pk_mul_f32 v[90:91], v[22:23], v[90:91]                  // 000000004418: D3B1405A 1802B516
	v_pk_mul_f32 v[92:93], v[22:23], v[92:93]                  // 000000004420: D3B1405C 1802B916
	v_pk_mul_f32 v[94:95], v[22:23], v[94:95]                  // 000000004428: D3B1405E 1802BD16
	v_pk_mul_f32 v[96:97], v[22:23], v[96:97]                  // 000000004430: D3B14060 1802C116
	v_pk_mul_f32 v[98:99], v[22:23], v[98:99]                  // 000000004438: D3B14062 1802C516
	v_pk_mul_f32 v[100:101], v[22:23], v[100:101]              // 000000004440: D3B14064 1802C916
	v_pk_mul_f32 v[102:103], v[22:23], v[102:103]              // 000000004448: D3B14066 1802CD16
	v_pk_mul_f32 v[104:105], v[22:23], v[104:105]              // 000000004450: D3B14068 1802D116
	v_pk_mul_f32 v[106:107], v[22:23], v[106:107]              // 000000004458: D3B1406A 1802D516
	v_pk_mul_f32 v[108:109], v[22:23], v[108:109]              // 000000004460: D3B1406C 1802D916
	v_pk_mul_f32 v[110:111], v[22:23], v[110:111]              // 000000004468: D3B1406E 1802DD16
	v_pk_mul_f32 v[112:113], v[22:23], v[112:113]              // 000000004470: D3B14070 1802E116
	v_pk_mul_f32 v[114:115], v[22:23], v[114:115]              // 000000004478: D3B14072 1802E516
	v_pk_mul_f32 v[116:117], v[22:23], v[116:117]              // 000000004480: D3B14074 1802E916
	v_pk_mul_f32 v[118:119], v[22:23], v[118:119]              // 000000004488: D3B14076 1802ED16
	v_pk_mul_f32 v[120:121], v[22:23], v[120:121]              // 000000004490: D3B14078 1802F116
	v_pk_mul_f32 v[122:123], v[22:23], v[122:123]              // 000000004498: D3B1407A 1802F516
	v_pk_mul_f32 v[124:125], v[22:23], v[124:125]              // 0000000044A0: D3B1407C 1802F916
	v_pk_mul_f32 v[126:127], v[22:23], v[126:127]              // 0000000044A8: D3B1407E 1802FD16
	v_pk_mul_f32 v[128:129], v[22:23], v[128:129]              // 0000000044B0: D3B14080 18030116
	v_pk_mul_f32 v[130:131], v[22:23], v[130:131]              // 0000000044B8: D3B14082 18030516
	v_pk_mul_f32 v[132:133], v[22:23], v[132:133]              // 0000000044C0: D3B14084 18030916
	v_pk_mul_f32 v[134:135], v[22:23], v[134:135]              // 0000000044C8: D3B14086 18030D16
	v_pk_mul_f32 v[136:137], v[22:23], v[136:137]              // 0000000044D0: D3B14088 18031116
	v_pk_mul_f32 v[138:139], v[22:23], v[138:139]              // 0000000044D8: D3B1408A 18031516
	v_pk_mul_f32 v[140:141], v[22:23], v[140:141]              // 0000000044E0: D3B1408C 18031916
	v_pk_mul_f32 v[142:143], v[22:23], v[142:143]              // 0000000044E8: D3B1408E 18031D16
	v_pk_mul_f32 v[144:145], v[22:23], v[144:145]              // 0000000044F0: D3B14090 18032116
	v_pk_mul_f32 v[146:147], v[22:23], v[146:147]              // 0000000044F8: D3B14092 18032516
	v_accvgpr_read_b32 v20, a216                               // 000000004500: D3D84014 180001D8
	v_accvgpr_read_b32 v21, a217                               // 000000004508: D3D84015 180001D9
	v_pk_mul_f32 v[20:21], v[22:23], v[20:21]                  // 000000004510: D3B14014 18022916
	v_accvgpr_write_b32 a216, v20                              // 000000004518: D3D940D8 18000114
	v_accvgpr_write_b32 a217, v21                              // 000000004520: D3D940D9 18000115
	v_accvgpr_read_b32 v20, a218                               // 000000004528: D3D84014 180001DA
	v_accvgpr_read_b32 v21, a219                               // 000000004530: D3D84015 180001DB
	v_pk_mul_f32 v[20:21], v[22:23], v[20:21]                  // 000000004538: D3B14014 18022916
	v_accvgpr_write_b32 a218, v20                              // 000000004540: D3D940DA 18000114
	v_accvgpr_write_b32 a219, v21                              // 000000004548: D3D940DB 18000115
	v_accvgpr_read_b32 v20, a220                               // 000000004550: D3D84014 180001DC
	v_accvgpr_read_b32 v21, a221                               // 000000004558: D3D84015 180001DD
	v_pk_mul_f32 v[20:21], v[22:23], v[20:21]                  // 000000004560: D3B14014 18022916
	v_accvgpr_write_b32 a220, v20                              // 000000004568: D3D940DC 18000114
	v_accvgpr_write_b32 a221, v21                              // 000000004570: D3D940DD 18000115
	v_accvgpr_read_b32 v20, a222                               // 000000004578: D3D84014 180001DE
	v_accvgpr_read_b32 v21, a223                               // 000000004580: D3D84015 180001DF
	v_pk_mul_f32 v[20:21], v[22:23], v[20:21]                  // 000000004588: D3B14014 18022916
	v_accvgpr_write_b32 a222, v20                              // 000000004590: D3D940DE 18000114
	v_accvgpr_write_b32 a223, v21                              // 000000004598: D3D940DF 18000115
	v_accvgpr_read_b32 v20, a224                               // 0000000045A0: D3D84014 180001E0
	v_accvgpr_read_b32 v21, a225                               // 0000000045A8: D3D84015 180001E1
	v_pk_mul_f32 v[20:21], v[22:23], v[20:21]                  // 0000000045B0: D3B14014 18022916
	v_accvgpr_write_b32 a224, v20                              // 0000000045B8: D3D940E0 18000114
	v_accvgpr_write_b32 a225, v21                              // 0000000045C0: D3D940E1 18000115
	v_accvgpr_read_b32 v20, a226                               // 0000000045C8: D3D84014 180001E2
	v_accvgpr_read_b32 v21, a227                               // 0000000045D0: D3D84015 180001E3
	v_pk_mul_f32 v[20:21], v[22:23], v[20:21]                  // 0000000045D8: D3B14014 18022916
	v_accvgpr_write_b32 a226, v20                              // 0000000045E0: D3D940E2 18000114
	v_accvgpr_write_b32 a227, v21                              // 0000000045E8: D3D940E3 18000115
	v_accvgpr_read_b32 v20, a228                               // 0000000045F0: D3D84014 180001E4
	v_accvgpr_read_b32 v21, a229                               // 0000000045F8: D3D84015 180001E5
	v_pk_mul_f32 v[20:21], v[22:23], v[20:21]                  // 000000004600: D3B14014 18022916
	v_accvgpr_write_b32 a228, v20                              // 000000004608: D3D940E4 18000114
	v_accvgpr_write_b32 a229, v21                              // 000000004610: D3D940E5 18000115
	v_accvgpr_read_b32 v20, a230                               // 000000004618: D3D84014 180001E6
	v_accvgpr_read_b32 v21, a231                               // 000000004620: D3D84015 180001E7
	v_pk_mul_f32 v[20:21], v[22:23], v[20:21]                  // 000000004628: D3B14014 18022916
	v_accvgpr_write_b32 a230, v20                              // 000000004630: D3D940E6 18000114
	v_accvgpr_write_b32 a231, v21                              // 000000004638: D3D940E7 18000115
	v_accvgpr_read_b32 v20, a232                               // 000000004640: D3D84014 180001E8
	v_accvgpr_read_b32 v21, a233                               // 000000004648: D3D84015 180001E9
	v_pk_mul_f32 v[20:21], v[22:23], v[20:21]                  // 000000004650: D3B14014 18022916
	v_accvgpr_write_b32 a232, v20                              // 000000004658: D3D940E8 18000114
	v_accvgpr_write_b32 a233, v21                              // 000000004660: D3D940E9 18000115
	v_accvgpr_read_b32 v20, a234                               // 000000004668: D3D84014 180001EA
	v_accvgpr_read_b32 v21, a235                               // 000000004670: D3D84015 180001EB
	v_pk_mul_f32 v[20:21], v[22:23], v[20:21]                  // 000000004678: D3B14014 18022916
	v_accvgpr_write_b32 a234, v20                              // 000000004680: D3D940EA 18000114
	v_accvgpr_write_b32 a235, v21                              // 000000004688: D3D940EB 18000115
	s_waitcnt lgkmcnt(0)                                       // 000000004690: BF8CC07F
	v_mfma_f32_16x16x16_bf16 v[40:43], a[144:145], v[32:33], v[40:43]// 000000004694: D3E10028 0CA24190
	ds_read_b128 a[176:179], v7 offset:45312                   // 00000000469C: DBFEB100 B0000007
	ds_read_b128 a[180:183], v7 offset:46336                   // 0000000046A4: DBFEB500 B4000007
	v_mfma_f32_16x16x16_bf16 v[44:47], a[146:147], v[32:33], v[44:47]// 0000000046AC: D3E1002C 0CB24192
	v_mfma_f32_16x16x16_bf16 v[48:51], a[148:149], v[32:33], v[48:51]// 0000000046B4: D3E10030 0CC24194
	v_mfma_f32_16x16x16_bf16 v[52:55], a[150:151], v[32:33], v[52:55]// 0000000046BC: D3E10034 0CD24196
	v_mfma_f32_16x16x16_bf16 v[56:59], a[152:153], v[32:33], v[56:59]// 0000000046C4: D3E10038 0CE24198
	ds_read_b128 a[184:187], v7 offset:47360                   // 0000000046CC: DBFEB900 B8000007
	ds_read_b128 a[188:191], v7 offset:48384                   // 0000000046D4: DBFEBD00 BC000007
	v_mfma_f32_16x16x16_bf16 v[60:63], a[154:155], v[32:33], v[60:63]// 0000000046DC: D3E1003C 0CF2419A
	v_mfma_f32_16x16x16_bf16 v[64:67], a[156:157], v[32:33], v[64:67]// 0000000046E4: D3E10040 0D02419C
	v_mfma_f32_16x16x16_bf16 v[68:71], a[158:159], v[32:33], v[68:71]// 0000000046EC: D3E10044 0D12419E
	v_mfma_f32_16x16x16_bf16 v[72:75], a[160:161], v[32:33], v[72:75]// 0000000046F4: D3E10048 0D2241A0
	ds_read_b128 a[192:195], v7 offset:49408                   // 0000000046FC: DBFEC100 C0000007
	ds_read_b128 a[196:199], v7 offset:50432                   // 000000004704: DBFEC500 C4000007
	v_mfma_f32_16x16x16_bf16 v[76:79], a[162:163], v[32:33], v[76:79]// 00000000470C: D3E1004C 0D3241A2
	v_mfma_f32_16x16x16_bf16 v[80:83], a[164:165], v[32:33], v[80:83]// 000000004714: D3E10050 0D4241A4
	v_mfma_f32_16x16x16_bf16 v[84:87], a[166:167], v[32:33], v[84:87]// 00000000471C: D3E10054 0D5241A6
	v_mfma_f32_16x16x16_bf16 v[88:91], a[168:169], v[32:33], v[88:91]// 000000004724: D3E10058 0D6241A8
	ds_read_b128 a[200:203], v7 offset:51456                   // 00000000472C: DBFEC900 C8000007
	ds_read_b128 a[204:207], v7 offset:52480                   // 000000004734: DBFECD00 CC000007
	v_mfma_f32_16x16x16_bf16 v[92:95], a[170:171], v[32:33], v[92:95]// 00000000473C: D3E1005C 0D7241AA
	v_mfma_f32_16x16x16_bf16 v[96:99], a[172:173], v[32:33], v[96:99]// 000000004744: D3E10060 0D8241AC
	v_mfma_f32_16x16x16_bf16 v[100:103], a[174:175], v[32:33], v[100:103]// 00000000474C: D3E10064 0D9241AE
	s_waitcnt lgkmcnt(4)                                       // 000000004754: BF8CC47F
	v_mfma_f32_16x16x16_bf16 v[104:107], a[176:177], v[32:33], v[104:107]// 000000004758: D3E10068 0DA241B0
	v_max3_f32 v24, v36, v37, v36                              // 000000004760: D1D30018 04924B24
	v_max3_f32 v24, v38, v39, v24                              // 000000004768: D1D30018 04624F26
	ds_write_b32 v3, v24 offset:54528                          // 000000004770: D81AD500 00001803
	v_mfma_f32_16x16x16_bf16 v[108:111], a[178:179], v[32:33], v[108:111]// 000000004778: D3E1006C 0DB241B2
	v_mfma_f32_16x16x16_bf16 v[112:115], a[180:181], v[32:33], v[112:115]// 000000004780: D3E10070 0DC241B4
	v_mfma_f32_16x16x16_bf16 v[116:119], a[182:183], v[32:33], v[116:119]// 000000004788: D3E10074 0DD241B6
	v_mfma_f32_16x16x16_bf16 v[120:123], a[184:185], v[32:33], v[120:123]// 000000004790: D3E10078 0DE241B8
	v_mfma_f32_16x16x16_bf16 v[124:127], a[186:187], v[32:33], v[124:127]// 000000004798: D3E1007C 0DF241BA
	v_mfma_f32_16x16x16_bf16 v[128:131], a[188:189], v[32:33], v[128:131]// 0000000047A0: D3E10080 0E0241BC
	v_mfma_f32_16x16x16_bf16 v[132:135], a[190:191], v[32:33], v[132:135]// 0000000047A8: D3E10084 0E1241BE
	s_waitcnt lgkmcnt(0)                                       // 0000000047B0: BF8CC07F
	v_mfma_f32_16x16x16_bf16 v[136:139], a[192:193], v[32:33], v[136:139]// 0000000047B4: D3E10088 0E2241C0
	s_waitcnt lgkmcnt(0)                                       // 0000000047BC: BF8CC07F
	ds_read_b32 v20, v2 offset:54528                           // 0000000047C0: D86CD500 14000002
	ds_read_b32 v21, v2 offset:54592                           // 0000000047C8: D86CD540 15000002
	v_mfma_f32_16x16x16_bf16 v[140:143], a[194:195], v[32:33], v[140:143]// 0000000047D0: D3E1008C 0E3241C2
	ds_read_b32 v22, v2 offset:54656                           // 0000000047D8: D86CD580 16000002
	ds_read_b32 v23, v2 offset:54720                           // 0000000047E0: D86CD5C0 17000002
	v_mfma_f32_16x16x16_bf16 v[144:147], a[196:197], v[32:33], v[144:147]// 0000000047E8: D3E10090 0E4241C4
	v_mfma_f32_16x16x16_bf16 a[216:219], a[198:199], v[32:33], a[216:219]// 0000000047F0: D3E180D8 0F6241C6
	v_mfma_f32_16x16x16_bf16 a[220:223], a[200:201], v[32:33], a[220:223]// 0000000047F8: D3E180DC 0F7241C8
	v_mfma_f32_16x16x16_bf16 a[224:227], a[202:203], v[32:33], a[224:227]// 000000004800: D3E180E0 0F8241CA
	v_mfma_f32_16x16x16_bf16 a[228:231], a[204:205], v[32:33], a[228:231]// 000000004808: D3E180E4 0F9241CC
	v_mfma_f32_16x16x16_bf16 a[232:235], a[206:207], v[32:33], a[232:235]// 000000004810: D3E180E8 0FA241CE
	s_waitcnt lgkmcnt(0)                                       // 000000004818: BF8CC07F
	v_max3_f32 v24, v20, v21, v24                              // 00000000481C: D1D30018 04622B14
	v_max3_f32 v24, v22, v23, v24                              // 000000004824: D1D30018 04622F16
	v_mov_b32_e32 v25, 0xff7fffff                              // 00000000482C: 7E3202FF FF7FFFFF
	v_cmp_eq_u32_e64 s[38:39], v25, v13                        // 000000004834: D0CA0026 00021B19
	v_max_f32_e32 v20, v24, v13                                // 00000000483C: 16281B18
	v_sub_f32_e32 v17, v13, v20                                // 000000004840: 0422290D
	v_cndmask_b32_e64 v17, v17, 0, s[38:39]                    // 000000004844: D1000011 00990111
	v_mov_b32_e32 v13, v20                                     // 00000000484C: 7E1A0314
	v_mul_f32_e32 v21, s5, v20                                 // 000000004850: 0A2A2805
	v_mul_f32_e32 v17, s5, v17                                 // 000000004854: 0A222205
	v_exp_f32_e32 v17, v17                                     // 000000004858: 7E224111
	v_fma_f32 v36, v36, s5, -v21                               // 00000000485C: D1CB0024 84540B24
	v_fma_f32 v37, v37, s5, -v21                               // 000000004864: D1CB0025 84540B25
	v_fma_f32 v38, v38, s5, -v21                               // 00000000486C: D1CB0026 84540B26
	v_fma_f32 v39, v39, s5, -v21                               // 000000004874: D1CB0027 84540B27
	v_exp_f32_e32 v36, v36                                     // 00000000487C: 7E484124
	v_exp_f32_e32 v37, v37                                     // 000000004880: 7E4A4125
	v_exp_f32_e32 v38, v38                                     // 000000004884: 7E4C4126
	v_exp_f32_e32 v39, v39                                     // 000000004888: 7E4E4127
	v_mul_f32_e32 v15, v17, v15                                // 00000000488C: 0A1E1F11
	v_mov_b32_e32 v22, v36                                     // 000000004890: 7E2C0324
	v_add_f32_e32 v22, v37, v22                                // 000000004894: 022C2D25
	v_add_f32_e32 v22, v38, v22                                // 000000004898: 022C2D26
	v_add_f32_e32 v22, v39, v22                                // 00000000489C: 022C2D27
	v_add_f32_e32 v15, v22, v15                                // 0000000048A0: 021E1F16
	v_mov_b32_e32 v29, 0xffff0000                              // 0000000048A4: 7E3A02FF FFFF0000
	v_mov_b32_e32 v30, 0x7fff0000                              // 0000000048AC: 7E3C02FF 7FFF0000
	v_mov_b32_e32 v31, 0x7fff                                  // 0000000048B4: 7E3E02FF 00007FFF
	v_cmp_u_f32_e64 s[38:39], v36, v36                         // 0000000048BC: D0480026 00024924
	v_add3_u32 v28, v36, v31, 1                                // 0000000048C4: D1FF001C 02063F24
	v_cndmask_b32_e64 v20, v28, v30, s[38:39]                  // 0000000048CC: D1000014 009A3D1C
	v_cmp_u_f32_e64 s[38:39], v37, v37                         // 0000000048D4: D0480026 00024B25
	v_add3_u32 v28, v37, v31, 1                                // 0000000048DC: D1FF001C 02063F25
	v_cndmask_b32_e64 v21, v28, v30, s[38:39]                  // 0000000048E4: D1000015 009A3D1C
	v_perm_b32 v36, v21, v20, s52                              // 0000000048EC: D1ED0024 00D22915
	v_cmp_u_f32_e64 s[38:39], v38, v38                         // 0000000048F4: D0480026 00024D26
	v_add3_u32 v28, v38, v31, 1                                // 0000000048FC: D1FF001C 02063F26
	v_cndmask_b32_e64 v20, v28, v30, s[38:39]                  // 000000004904: D1000014 009A3D1C
	v_cmp_u_f32_e64 s[38:39], v39, v39                         // 00000000490C: D0480026 00024F27
	v_add3_u32 v28, v39, v31, 1                                // 000000004914: D1FF001C 02063F27
	v_cndmask_b32_e64 v21, v28, v30, s[38:39]                  // 00000000491C: D1000015 009A3D1C
	v_perm_b32 v37, v21, v20, s52                              // 000000004924: D1ED0025 00D22915
	s_nop 2                                                    // 00000000492C: BF800002
	v_mov_b32_e32 v22, v17                                     // 000000004930: 7E2C0311
	v_mov_b32_e32 v23, v17                                     // 000000004934: 7E2E0311
	v_pk_mul_f32 v[148:149], v[22:23], v[148:149]              // 000000004938: D3B14094 18032916
	v_pk_mul_f32 v[150:151], v[22:23], v[150:151]              // 000000004940: D3B14096 18032D16
	v_pk_mul_f32 v[152:153], v[22:23], v[152:153]              // 000000004948: D3B14098 18033116
	v_pk_mul_f32 v[154:155], v[22:23], v[154:155]              // 000000004950: D3B1409A 18033516
	v_pk_mul_f32 v[156:157], v[22:23], v[156:157]              // 000000004958: D3B1409C 18033916
	v_pk_mul_f32 v[158:159], v[22:23], v[158:159]              // 000000004960: D3B1409E 18033D16
	v_pk_mul_f32 v[160:161], v[22:23], v[160:161]              // 000000004968: D3B140A0 18034116
	v_pk_mul_f32 v[162:163], v[22:23], v[162:163]              // 000000004970: D3B140A2 18034516
	v_pk_mul_f32 v[164:165], v[22:23], v[164:165]              // 000000004978: D3B140A4 18034916
	v_pk_mul_f32 v[166:167], v[22:23], v[166:167]              // 000000004980: D3B140A6 18034D16
	v_pk_mul_f32 v[168:169], v[22:23], v[168:169]              // 000000004988: D3B140A8 18035116
	v_pk_mul_f32 v[170:171], v[22:23], v[170:171]              // 000000004990: D3B140AA 18035516
	v_pk_mul_f32 v[172:173], v[22:23], v[172:173]              // 000000004998: D3B140AC 18035916
	v_pk_mul_f32 v[174:175], v[22:23], v[174:175]              // 0000000049A0: D3B140AE 18035D16
	v_pk_mul_f32 v[176:177], v[22:23], v[176:177]              // 0000000049A8: D3B140B0 18036116
	v_pk_mul_f32 v[178:179], v[22:23], v[178:179]              // 0000000049B0: D3B140B2 18036516
	v_pk_mul_f32 v[180:181], v[22:23], v[180:181]              // 0000000049B8: D3B140B4 18036916
	v_pk_mul_f32 v[182:183], v[22:23], v[182:183]              // 0000000049C0: D3B140B6 18036D16
	v_pk_mul_f32 v[184:185], v[22:23], v[184:185]              // 0000000049C8: D3B140B8 18037116
	v_pk_mul_f32 v[186:187], v[22:23], v[186:187]              // 0000000049D0: D3B140BA 18037516
	v_pk_mul_f32 v[188:189], v[22:23], v[188:189]              // 0000000049D8: D3B140BC 18037916
	v_pk_mul_f32 v[190:191], v[22:23], v[190:191]              // 0000000049E0: D3B140BE 18037D16
	v_pk_mul_f32 v[192:193], v[22:23], v[192:193]              // 0000000049E8: D3B140C0 18038116
	v_pk_mul_f32 v[194:195], v[22:23], v[194:195]              // 0000000049F0: D3B140C2 18038516
	v_pk_mul_f32 v[196:197], v[22:23], v[196:197]              // 0000000049F8: D3B140C4 18038916
	v_pk_mul_f32 v[198:199], v[22:23], v[198:199]              // 000000004A00: D3B140C6 18038D16
	v_pk_mul_f32 v[200:201], v[22:23], v[200:201]              // 000000004A08: D3B140C8 18039116
	v_pk_mul_f32 v[202:203], v[22:23], v[202:203]              // 000000004A10: D3B140CA 18039516
	v_pk_mul_f32 v[204:205], v[22:23], v[204:205]              // 000000004A18: D3B140CC 18039916
	v_pk_mul_f32 v[206:207], v[22:23], v[206:207]              // 000000004A20: D3B140CE 18039D16
	v_pk_mul_f32 v[208:209], v[22:23], v[208:209]              // 000000004A28: D3B140D0 1803A116
	v_pk_mul_f32 v[210:211], v[22:23], v[210:211]              // 000000004A30: D3B140D2 1803A516
	v_pk_mul_f32 v[212:213], v[22:23], v[212:213]              // 000000004A38: D3B140D4 1803A916
	v_pk_mul_f32 v[214:215], v[22:23], v[214:215]              // 000000004A40: D3B140D6 1803AD16
	v_pk_mul_f32 v[216:217], v[22:23], v[216:217]              // 000000004A48: D3B140D8 1803B116
	v_pk_mul_f32 v[218:219], v[22:23], v[218:219]              // 000000004A50: D3B140DA 1803B516
	v_pk_mul_f32 v[220:221], v[22:23], v[220:221]              // 000000004A58: D3B140DC 1803B916
	v_pk_mul_f32 v[222:223], v[22:23], v[222:223]              // 000000004A60: D3B140DE 1803BD16
	v_pk_mul_f32 v[224:225], v[22:23], v[224:225]              // 000000004A68: D3B140E0 1803C116
	v_pk_mul_f32 v[226:227], v[22:23], v[226:227]              // 000000004A70: D3B140E2 1803C516
	v_pk_mul_f32 v[228:229], v[22:23], v[228:229]              // 000000004A78: D3B140E4 1803C916
	v_pk_mul_f32 v[230:231], v[22:23], v[230:231]              // 000000004A80: D3B140E6 1803CD16
	v_pk_mul_f32 v[232:233], v[22:23], v[232:233]              // 000000004A88: D3B140E8 1803D116
	v_pk_mul_f32 v[234:235], v[22:23], v[234:235]              // 000000004A90: D3B140EA 1803D516
	v_pk_mul_f32 v[236:237], v[22:23], v[236:237]              // 000000004A98: D3B140EC 1803D916
	v_pk_mul_f32 v[238:239], v[22:23], v[238:239]              // 000000004AA0: D3B140EE 1803DD16
	v_pk_mul_f32 v[240:241], v[22:23], v[240:241]              // 000000004AA8: D3B140F0 1803E116
	v_pk_mul_f32 v[242:243], v[22:23], v[242:243]              // 000000004AB0: D3B140F2 1803E516
	v_pk_mul_f32 v[244:245], v[22:23], v[244:245]              // 000000004AB8: D3B140F4 1803E916
	v_pk_mul_f32 v[246:247], v[22:23], v[246:247]              // 000000004AC0: D3B140F6 1803ED16
	v_pk_mul_f32 v[248:249], v[22:23], v[248:249]              // 000000004AC8: D3B140F8 1803F116
	v_pk_mul_f32 v[250:251], v[22:23], v[250:251]              // 000000004AD0: D3B140FA 1803F516
	v_pk_mul_f32 v[252:253], v[22:23], v[252:253]              // 000000004AD8: D3B140FC 1803F916
	v_pk_mul_f32 v[254:255], v[22:23], v[254:255]              // 000000004AE0: D3B140FE 1803FD16
	v_accvgpr_read_b32 v20, a236                               // 000000004AE8: D3D84014 180001EC
	v_accvgpr_read_b32 v21, a237                               // 000000004AF0: D3D84015 180001ED
	v_pk_mul_f32 v[20:21], v[22:23], v[20:21]                  // 000000004AF8: D3B14014 18022916
	v_accvgpr_write_b32 a236, v20                              // 000000004B00: D3D940EC 18000114
	v_accvgpr_write_b32 a237, v21                              // 000000004B08: D3D940ED 18000115
	v_accvgpr_read_b32 v20, a238                               // 000000004B10: D3D84014 180001EE
	v_accvgpr_read_b32 v21, a239                               // 000000004B18: D3D84015 180001EF
	v_pk_mul_f32 v[20:21], v[22:23], v[20:21]                  // 000000004B20: D3B14014 18022916
	v_accvgpr_write_b32 a238, v20                              // 000000004B28: D3D940EE 18000114
	v_accvgpr_write_b32 a239, v21                              // 000000004B30: D3D940EF 18000115
	v_accvgpr_read_b32 v20, a240                               // 000000004B38: D3D84014 180001F0
	v_accvgpr_read_b32 v21, a241                               // 000000004B40: D3D84015 180001F1
	v_pk_mul_f32 v[20:21], v[22:23], v[20:21]                  // 000000004B48: D3B14014 18022916
	v_accvgpr_write_b32 a240, v20                              // 000000004B50: D3D940F0 18000114
	v_accvgpr_write_b32 a241, v21                              // 000000004B58: D3D940F1 18000115
	v_accvgpr_read_b32 v20, a242                               // 000000004B60: D3D84014 180001F2
	v_accvgpr_read_b32 v21, a243                               // 000000004B68: D3D84015 180001F3
	v_pk_mul_f32 v[20:21], v[22:23], v[20:21]                  // 000000004B70: D3B14014 18022916
	v_accvgpr_write_b32 a242, v20                              // 000000004B78: D3D940F2 18000114
	v_accvgpr_write_b32 a243, v21                              // 000000004B80: D3D940F3 18000115
	v_accvgpr_read_b32 v20, a244                               // 000000004B88: D3D84014 180001F4
	v_accvgpr_read_b32 v21, a245                               // 000000004B90: D3D84015 180001F5
	v_pk_mul_f32 v[20:21], v[22:23], v[20:21]                  // 000000004B98: D3B14014 18022916
	v_accvgpr_write_b32 a244, v20                              // 000000004BA0: D3D940F4 18000114
	v_accvgpr_write_b32 a245, v21                              // 000000004BA8: D3D940F5 18000115
	v_accvgpr_read_b32 v20, a246                               // 000000004BB0: D3D84014 180001F6
	v_accvgpr_read_b32 v21, a247                               // 000000004BB8: D3D84015 180001F7
	v_pk_mul_f32 v[20:21], v[22:23], v[20:21]                  // 000000004BC0: D3B14014 18022916
	v_accvgpr_write_b32 a246, v20                              // 000000004BC8: D3D940F6 18000114
	v_accvgpr_write_b32 a247, v21                              // 000000004BD0: D3D940F7 18000115
	v_accvgpr_read_b32 v20, a248                               // 000000004BD8: D3D84014 180001F8
	v_accvgpr_read_b32 v21, a249                               // 000000004BE0: D3D84015 180001F9
	v_pk_mul_f32 v[20:21], v[22:23], v[20:21]                  // 000000004BE8: D3B14014 18022916
	v_accvgpr_write_b32 a248, v20                              // 000000004BF0: D3D940F8 18000114
	v_accvgpr_write_b32 a249, v21                              // 000000004BF8: D3D940F9 18000115
	v_accvgpr_read_b32 v20, a250                               // 000000004C00: D3D84014 180001FA
	v_accvgpr_read_b32 v21, a251                               // 000000004C08: D3D84015 180001FB
	v_pk_mul_f32 v[20:21], v[22:23], v[20:21]                  // 000000004C10: D3B14014 18022916
	v_accvgpr_write_b32 a250, v20                              // 000000004C18: D3D940FA 18000114
	v_accvgpr_write_b32 a251, v21                              // 000000004C20: D3D940FB 18000115
	v_accvgpr_read_b32 v20, a252                               // 000000004C28: D3D84014 180001FC
	v_accvgpr_read_b32 v21, a253                               // 000000004C30: D3D84015 180001FD
	v_pk_mul_f32 v[20:21], v[22:23], v[20:21]                  // 000000004C38: D3B14014 18022916
	v_accvgpr_write_b32 a252, v20                              // 000000004C40: D3D940FC 18000114
	v_accvgpr_write_b32 a253, v21                              // 000000004C48: D3D940FD 18000115
	v_accvgpr_read_b32 v20, a254                               // 000000004C50: D3D84014 180001FE
	v_accvgpr_read_b32 v21, a255                               // 000000004C58: D3D84015 180001FF
	v_pk_mul_f32 v[20:21], v[22:23], v[20:21]                  // 000000004C60: D3B14014 18022916
	v_accvgpr_write_b32 a254, v20                              // 000000004C68: D3D940FE 18000114
	v_accvgpr_write_b32 a255, v21                              // 000000004C70: D3D940FF 18000115
	s_waitcnt vmcnt(18) lgkmcnt(0)                             // 000000004C78: BF8C4072
	s_barrier                                                  // 000000004C7C: BF8A0000
	v_mfma_f32_16x16x16_bf16 v[148:151], a[144:145], v[36:37], v[148:151]// 000000004C80: D3E10094 0E524990
	v_mfma_f32_16x16x16_bf16 v[152:155], a[146:147], v[36:37], v[152:155]// 000000004C88: D3E10098 0E624992
	ds_read_b64 v[20:21], v5                                   // 000000004C90: D8EC0000 14000005
	ds_read_b64 v[22:23], v5 offset:4640                       // 000000004C98: D8EC1220 16000005
	ds_read_b64 v[24:25], v5 offset:9280                       // 000000004CA0: D8EC2440 18000005
	ds_read_b64 v[26:27], v5 offset:13920                      // 000000004CA8: D8EC3660 1A000005
	v_mfma_f32_16x16x16_bf16 v[156:159], a[148:149], v[36:37], v[156:159]// 000000004CB0: D3E1009C 0E724994
	v_mfma_f32_16x16x16_bf16 v[160:163], a[150:151], v[36:37], v[160:163]// 000000004CB8: D3E100A0 0E824996
	v_mfma_f32_16x16x16_bf16 v[164:167], a[152:153], v[36:37], v[164:167]// 000000004CC0: D3E100A4 0E924998
	v_mfma_f32_16x16x16_bf16 v[168:171], a[154:155], v[36:37], v[168:171]// 000000004CC8: D3E100A8 0EA2499A
	ds_read_b128 a[144:147], v4                                // 000000004CD0: DBFE0000 90000004
	ds_read_b128 a[148:151], v4 offset:64                      // 000000004CD8: DBFE0040 94000004
	v_mfma_f32_16x16x16_bf16 v[172:175], a[156:157], v[36:37], v[172:175]// 000000004CE0: D3E100AC 0EB2499C
	v_mfma_f32_16x16x16_bf16 v[176:179], a[158:159], v[36:37], v[176:179]// 000000004CE8: D3E100B0 0EC2499E
	s_waitcnt lgkmcnt(2)                                       // 000000004CF0: BF8CC27F
	v_perm_b32 v28, v22, v20, s53                              // 000000004CF4: D1ED001C 00D62916
	v_perm_b32 v30, v22, v20, s52                              // 000000004CFC: D1ED001E 00D22916
	v_perm_b32 v29, v26, v24, s53                              // 000000004D04: D1ED001D 00D6311A
	v_perm_b32 v31, v26, v24, s52                              // 000000004D0C: D1ED001F 00D2311A
	v_mfma_f32_16x16x16_bf16 v[180:183], a[160:161], v[36:37], v[180:183]// 000000004D14: D3E100B4 0ED249A0
	v_mfma_f32_16x16x16_bf16 v[184:187], a[162:163], v[36:37], v[184:187]// 000000004D1C: D3E100B8 0EE249A2
	ds_write_b128 v6, v[28:31] offset:37120                    // 000000004D24: D9BE9100 00001C06
	v_mfma_f32_16x16x16_bf16 v[188:191], a[164:165], v[36:37], v[188:191]// 000000004D2C: D3E100BC 0EF249A4
	v_mfma_f32_16x16x16_bf16 v[192:195], a[166:167], v[36:37], v[192:195]// 000000004D34: D3E100C0 0F0249A6
	v_perm_b32 v28, v23, v21, s53                              // 000000004D3C: D1ED001C 00D62B17
	v_perm_b32 v30, v23, v21, s52                              // 000000004D44: D1ED001E 00D22B17
	v_perm_b32 v29, v27, v25, s53                              // 000000004D4C: D1ED001D 00D6331B
	v_perm_b32 v31, v27, v25, s52                              // 000000004D54: D1ED001F 00D2331B
	v_mfma_f32_16x16x16_bf16 v[196:199], a[168:169], v[36:37], v[196:199]// 000000004D5C: D3E100C4 0F1249A8
	v_mfma_f32_16x16x16_bf16 v[200:203], a[170:171], v[36:37], v[200:203]// 000000004D64: D3E100C8 0F2249AA
	ds_write_b128 v6, v[28:31] offset:38144                    // 000000004D6C: D9BE9500 00001C06
	v_mfma_f32_16x16x16_bf16 v[204:207], a[172:173], v[36:37], v[204:207]// 000000004D74: D3E100CC 0F3249AC
	v_mfma_f32_16x16x16_bf16 v[208:211], a[174:175], v[36:37], v[208:211]// 000000004D7C: D3E100D0 0F4249AE
	v_mfma_f32_16x16x16_bf16 v[212:215], a[176:177], v[36:37], v[212:215]// 000000004D84: D3E100D4 0F5249B0
	v_mfma_f32_16x16x16_bf16 v[216:219], a[178:179], v[36:37], v[216:219]// 000000004D8C: D3E100D8 0F6249B2
	ds_read_b64 v[20:21], v5 offset:1024                       // 000000004D94: D8EC0400 14000005
	ds_read_b64 v[22:23], v5 offset:5664                       // 000000004D9C: D8EC1620 16000005
	v_mfma_f32_16x16x16_bf16 v[220:223], a[180:181], v[36:37], v[220:223]// 000000004DA4: D3E100DC 0F7249B4
	v_mfma_f32_16x16x16_bf16 v[224:227], a[182:183], v[36:37], v[224:227]// 000000004DAC: D3E100E0 0F8249B6
	ds_read_b64 v[24:25], v5 offset:10304                      // 000000004DB4: D8EC2840 18000005
	ds_read_b64 v[26:27], v5 offset:14944                      // 000000004DBC: D8EC3A60 1A000005
	v_mfma_f32_16x16x16_bf16 v[228:231], a[184:185], v[36:37], v[228:231]// 000000004DC4: D3E100E4 0F9249B8
	v_mfma_f32_16x16x16_bf16 v[232:235], a[186:187], v[36:37], v[232:235]// 000000004DCC: D3E100E8 0FA249BA
	ds_read_b128 a[152:155], v4 offset:256                     // 000000004DD4: DBFE0100 98000004
	ds_read_b128 a[156:159], v4 offset:320                     // 000000004DDC: DBFE0140 9C000004
	v_mfma_f32_16x16x16_bf16 v[236:239], a[188:189], v[36:37], v[236:239]// 000000004DE4: D3E100EC 0FB249BC
	v_mfma_f32_16x16x16_bf16 v[240:243], a[190:191], v[36:37], v[240:243]// 000000004DEC: D3E100F0 0FC249BE
	v_mfma_f32_16x16x16_bf16 v[244:247], a[192:193], v[36:37], v[244:247]// 000000004DF4: D3E100F4 0FD249C0
	v_mfma_f32_16x16x16_bf16 v[248:251], a[194:195], v[36:37], v[248:251]// 000000004DFC: D3E100F8 0FE249C2
	ds_read_b128 a[160:163], v4 offset:512                     // 000000004E04: DBFE0200 A0000004
	ds_read_b128 a[164:167], v4 offset:576                     // 000000004E0C: DBFE0240 A4000004
	v_mfma_f32_16x16x16_bf16 v[252:255], a[196:197], v[36:37], v[252:255]// 000000004E14: D3E100FC 0FF249C4
	v_mfma_f32_16x16x16_bf16 a[236:239], a[198:199], v[36:37], a[236:239]// 000000004E1C: D3E180EC 0FB249C6
	v_mfma_f32_16x16x16_bf16 a[240:243], a[200:201], v[36:37], a[240:243]// 000000004E24: D3E180F0 0FC249C8
	v_mfma_f32_16x16x16_bf16 a[244:247], a[202:203], v[36:37], a[244:247]// 000000004E2C: D3E180F4 0FD249CA
	ds_read_b128 a[168:171], v4 offset:768                     // 000000004E34: DBFE0300 A8000004
	ds_read_b128 a[172:175], v4 offset:832                     // 000000004E3C: DBFE0340 AC000004
	v_mfma_f32_16x16x16_bf16 a[248:251], a[204:205], v[36:37], a[248:251]// 000000004E44: D3E180F8 0FE249CC
	v_mfma_f32_16x16x16_bf16 a[252:255], a[206:207], v[36:37], a[252:255]// 000000004E4C: D3E180FC 0FF249CE
	s_nop 0                                                    // 000000004E54: BF800000
	s_addk_i32 s70, 0x1                                        // 000000004E58: B7460001
	s_cmp_lt_i32 s70, s71                                      // 000000004E5C: BF044746
	s_cbranch_scc0 label_0F9A                                  // 000000004E60: BF840001
	s_branch label_068D                                        // 000000004E64: BF82F6F3

0000000000004e68 <label_0F9A>:
	s_nop 0                                                    // 000000004E68: BF800000
	s_nop 0                                                    // 000000004E6C: BF800000
	s_branch label_18AA                                        // 000000004E70: BF82090D

0000000000004e74 <label_0F9D>:
	s_waitcnt lgkmcnt(4)                                       // 000000004E74: BF8CC47F
	v_mfma_f32_16x16x16_bf16 v[32:35], a[144:145], a[0:1], 0   // 000000004E78: D3E10020 1A020190
	buffer_load_dword v10, v8, s[24:27], 0 offen               // 000000004E80: E0501000 80060A08
	v_mfma_f32_16x16x16_bf16 v[32:35], a[146:147], a[2:3], v[32:35]// 000000004E88: D3E10020 1C820592
	ds_read_b128 a[176:179], v4 offset:1024                    // 000000004E90: DBFE0400 B0000004
	ds_read_b128 a[180:183], v4 offset:1088                    // 000000004E98: DBFE0440 B4000004
	v_mfma_f32_16x16x16_bf16 v[32:35], a[148:149], a[4:5], v[32:35]// 000000004EA0: D3E10020 1C820994
	v_mfma_f32_16x16x16_bf16 v[32:35], a[150:151], a[6:7], v[32:35]// 000000004EA8: D3E10020 1C820D96
	v_mfma_f32_16x16x16_bf16 v[32:35], a[152:153], a[8:9], v[32:35]// 000000004EB0: D3E10020 1C821198
	v_mfma_f32_16x16x16_bf16 v[32:35], a[154:155], a[10:11], v[32:35]// 000000004EB8: D3E10020 1C82159A
	ds_read_b128 a[184:187], v4 offset:1280                    // 000000004EC0: DBFE0500 B8000004
	ds_read_b128 a[188:191], v4 offset:1344                    // 000000004EC8: DBFE0540 BC000004
	v_mfma_f32_16x16x16_bf16 v[32:35], a[156:157], a[12:13], v[32:35]// 000000004ED0: D3E10020 1C82199C
	v_mfma_f32_16x16x16_bf16 v[32:35], a[158:159], a[14:15], v[32:35]// 000000004ED8: D3E10020 1C821D9E
	s_waitcnt lgkmcnt(4)                                       // 000000004EE0: BF8CC47F
	v_mfma_f32_16x16x16_bf16 v[32:35], a[160:161], a[16:17], v[32:35]// 000000004EE4: D3E10020 1C8221A0
	v_mfma_f32_16x16x16_bf16 v[32:35], a[162:163], a[18:19], v[32:35]// 000000004EEC: D3E10020 1C8225A2
	ds_read_b128 a[192:195], v4 offset:1536                    // 000000004EF4: DBFE0600 C0000004
	ds_read_b128 a[196:199], v4 offset:1600                    // 000000004EFC: DBFE0640 C4000004
	v_mfma_f32_16x16x16_bf16 v[32:35], a[164:165], a[20:21], v[32:35]// 000000004F04: D3E10020 1C8229A4
	v_mfma_f32_16x16x16_bf16 v[32:35], a[166:167], a[22:23], v[32:35]// 000000004F0C: D3E10020 1C822DA6
	v_mfma_f32_16x16x16_bf16 v[32:35], a[168:169], a[24:25], v[32:35]// 000000004F14: D3E10020 1C8231A8
	v_mfma_f32_16x16x16_bf16 v[32:35], a[170:171], a[26:27], v[32:35]// 000000004F1C: D3E10020 1C8235AA
	ds_read_b128 a[200:203], v4 offset:1792                    // 000000004F24: DBFE0700 C8000004
	ds_read_b128 a[204:207], v4 offset:1856                    // 000000004F2C: DBFE0740 CC000004
	v_mfma_f32_16x16x16_bf16 v[32:35], a[172:173], a[28:29], v[32:35]// 000000004F34: D3E10020 1C8239AC
	v_mfma_f32_16x16x16_bf16 v[32:35], a[174:175], a[30:31], v[32:35]// 000000004F3C: D3E10020 1C823DAE
	s_waitcnt lgkmcnt(4)                                       // 000000004F44: BF8CC47F
	s_barrier                                                  // 000000004F48: BF8A0000
	v_mfma_f32_16x16x16_bf16 v[32:35], a[176:177], a[32:33], v[32:35]// 000000004F4C: D3E10020 1C8241B0
	v_mfma_f32_16x16x16_bf16 v[32:35], a[178:179], a[34:35], v[32:35]// 000000004F54: D3E10020 1C8245B2
	ds_read_b128 a[208:211], v4 offset:2048                    // 000000004F5C: DBFE0800 D0000004
	ds_read_b128 a[212:215], v4 offset:2112                    // 000000004F64: DBFE0840 D4000004
	v_mfma_f32_16x16x16_bf16 v[32:35], a[180:181], a[36:37], v[32:35]// 000000004F6C: D3E10020 1C8249B4
	buffer_load_dword v18, s[20:23], 0 offen lds               // 000000004F74: E0511000 80050012
	s_add_u32 m0, 0, s35                                       // 000000004F7C: 807C2380
	v_mfma_f32_16x16x16_bf16 v[32:35], a[182:183], a[38:39], v[32:35]// 000000004F80: D3E10020 1C824DB6
	v_perm_b32 v28, v22, v20, s53                              // 000000004F88: D1ED001C 00D62916
	v_perm_b32 v30, v22, v20, s52                              // 000000004F90: D1ED001E 00D22916
	v_perm_b32 v29, v26, v24, s53                              // 000000004F98: D1ED001D 00D6311A
	v_perm_b32 v31, v26, v24, s52                              // 000000004FA0: D1ED001F 00D2311A
	v_mfma_f32_16x16x16_bf16 v[32:35], a[184:185], a[40:41], v[32:35]// 000000004FA8: D3E10020 1C8251B8
	buffer_load_dword v19, s[20:23], 0 offen lds               // 000000004FB0: E0511000 80050013
	s_add_u32 m0, 0x80, s34                                    // 000000004FB8: 807C22FF 00000080
	v_mfma_f32_16x16x16_bf16 v[32:35], a[186:187], a[42:43], v[32:35]// 000000004FC0: D3E10020 1C8255BA
	ds_write_b128 v6, v[28:31] offset:45312                    // 000000004FC8: D9BEB100 00001C06
	v_mfma_f32_16x16x16_bf16 v[32:35], a[188:189], a[44:45], v[32:35]// 000000004FD0: D3E10020 1C8259BC
	buffer_load_dword v18, s[20:23], 0 offen offset:128 lds    // 000000004FD8: E0511080 80050012
	s_add_u32 m0, 0x80, s35                                    // 000000004FE0: 807C23FF 00000080
	v_mfma_f32_16x16x16_bf16 v[32:35], a[190:191], a[46:47], v[32:35]// 000000004FE8: D3E10020 1C825DBE
	v_perm_b32 v28, v23, v21, s53                              // 000000004FF0: D1ED001C 00D62B17
	v_perm_b32 v30, v23, v21, s52                              // 000000004FF8: D1ED001E 00D22B17
	v_perm_b32 v29, v27, v25, s53                              // 000000005000: D1ED001D 00D6331B
	v_perm_b32 v31, v27, v25, s52                              // 000000005008: D1ED001F 00D2331B
	s_waitcnt lgkmcnt(1)                                       // 000000005010: BF8CC17F
	v_mfma_f32_16x16x16_bf16 v[32:35], a[192:193], a[48:49], v[32:35]// 000000005014: D3E10020 1C8261C0
	buffer_load_dword v19, s[20:23], 0 offen offset:128 lds    // 00000000501C: E0511080 80050013
	s_add_u32 m0, 0x100, s34                                   // 000000005024: 807C22FF 00000100
	v_mfma_f32_16x16x16_bf16 v[32:35], a[194:195], a[50:51], v[32:35]// 00000000502C: D3E10020 1C8265C2
	ds_write_b128 v6, v[28:31] offset:46336                    // 000000005034: D9BEB500 00001C06
	v_mfma_f32_16x16x16_bf16 v[32:35], a[196:197], a[52:53], v[32:35]// 00000000503C: D3E10020 1C8269C4
	buffer_load_dword v18, s[20:23], 0 offen offset:256 lds    // 000000005044: E0511100 80050012
	s_add_u32 m0, 0x100, s35                                   // 00000000504C: 807C23FF 00000100
	v_mfma_f32_16x16x16_bf16 v[32:35], a[198:199], a[54:55], v[32:35]// 000000005054: D3E10020 1C826DC6
	v_mfma_f32_16x16x16_bf16 v[32:35], a[200:201], a[56:57], v[32:35]// 00000000505C: D3E10020 1C8271C8
	buffer_load_dword v19, s[20:23], 0 offen offset:256 lds    // 000000005064: E0511100 80050013
	s_add_u32 m0, 0x180, s34                                   // 00000000506C: 807C22FF 00000180
	v_mfma_f32_16x16x16_bf16 v[32:35], a[202:203], a[58:59], v[32:35]// 000000005074: D3E10020 1C8275CA
	v_mfma_f32_16x16x16_bf16 v[32:35], a[204:205], a[60:61], v[32:35]// 00000000507C: D3E10020 1C8279CC
	buffer_load_dword v18, s[20:23], 0 offen offset:384 lds    // 000000005084: E0511180 80050012
	s_add_u32 m0, 0x180, s35                                   // 00000000508C: 807C23FF 00000180
	v_mfma_f32_16x16x16_bf16 v[32:35], a[206:207], a[62:63], v[32:35]// 000000005094: D3E10020 1C827DCE
	v_mfma_f32_16x16x16_bf16 v[32:35], a[208:209], a[64:65], v[32:35]// 00000000509C: D3E10020 1C8281D0
	buffer_load_dword v19, s[20:23], 0 offen offset:384 lds    // 0000000050A4: E0511180 80050013
	s_add_u32 m0, 0x200, s34                                   // 0000000050AC: 807C22FF 00000200
	v_mfma_f32_16x16x16_bf16 v[32:35], a[210:211], a[66:67], v[32:35]// 0000000050B4: D3E10020 1C8285D2
	v_mfma_f32_16x16x16_bf16 v[32:35], a[212:213], a[68:69], v[32:35]// 0000000050BC: D3E10020 1C8289D4
	buffer_load_dword v18, s[20:23], 0 offen offset:512 lds    // 0000000050C4: E0511200 80050012
	s_add_u32 m0, 0x200, s35                                   // 0000000050CC: 807C23FF 00000200
	v_mfma_f32_16x16x16_bf16 v[32:35], a[214:215], a[70:71], v[32:35]// 0000000050D4: D3E10020 1C828DD6
	v_add_u32_e32 v8, s73, v8                                  // 0000000050DC: 68101049
	s_cmp_le_i32 s83, s82                                      // 0000000050E0: BF055253
	s_cbranch_scc1 label_105C                                  // 0000000050E4: BF850022
	v_mov_b32_e32 v25, 0xff800000                              // 0000000050E8: 7E3202FF FF800000
	v_mov_b32_e32 v24, s82                                     // 0000000050F0: 7E300252
	s_sub_u32 s56, s83, 15                                     // 0000000050F4: 80B88F53
	v_lshrrev_b32_e32 v20, 4, v0                               // 0000000050F8: 20280084
	v_mul_i32_i24_e32 v20, 4, v20                              // 0000000050FC: 0C282884
	v_add_u32_e32 v20, s56, v20                                // 000000005100: 68282838
	v_add_u32_e32 v21, 1, v20                                  // 000000005104: 682A2881
	v_add_u32_e32 v22, 2, v20                                  // 000000005108: 682C2882
	v_add_u32_e32 v23, 3, v20                                  // 00000000510C: 682E2883
	v_cmp_le_u32_e64 s[38:39], v20, v24                        // 000000005110: D0CB0026 00023114
	v_add_u32_e32 v20, 64, v20                                 // 000000005118: 682828C0
	s_nop 0                                                    // 00000000511C: BF800000
	v_cndmask_b32_e64 v32, v25, v32, s[38:39]                  // 000000005120: D1000020 009A4119
	v_cmp_le_u32_e64 s[38:39], v21, v24                        // 000000005128: D0CB0026 00023115
	v_add_u32_e32 v21, 64, v21                                 // 000000005130: 682A2AC0
	s_nop 0                                                    // 000000005134: BF800000
	v_cndmask_b32_e64 v33, v25, v33, s[38:39]                  // 000000005138: D1000021 009A4319
	v_cmp_le_u32_e64 s[38:39], v22, v24                        // 000000005140: D0CB0026 00023116
	v_add_u32_e32 v22, 64, v22                                 // 000000005148: 682C2CC0
	s_nop 0                                                    // 00000000514C: BF800000
	v_cndmask_b32_e64 v34, v25, v34, s[38:39]                  // 000000005150: D1000022 009A4519
	v_cmp_le_u32_e64 s[38:39], v23, v24                        // 000000005158: D0CB0026 00023117
	v_add_u32_e32 v23, 64, v23                                 // 000000005160: 682E2EC0
	s_nop 0                                                    // 000000005164: BF800000
	v_cndmask_b32_e64 v35, v25, v35, s[38:39]                  // 000000005168: D1000023 009A4719

0000000000005170 <label_105C>:
	s_waitcnt lgkmcnt(0)                                       // 000000005170: BF8CC07F
	s_barrier                                                  // 000000005174: BF8A0000
	v_mfma_f32_16x16x16_bf16 v[36:39], a[144:145], a[72:73], 0 // 000000005178: D3E10024 1A029190
	v_mfma_f32_16x16x16_bf16 v[36:39], a[146:147], a[74:75], v[36:39]// 000000005180: D3E10024 1C929592
	v_max3_f32 v24, v32, v33, v32                              // 000000005188: D1D30018 04824320
	v_max3_f32 v24, v34, v35, v24                              // 000000005190: D1D30018 04624722
	ds_write_b32 v3, v24 offset:53504                          // 000000005198: D81AD100 00001803
	v_mfma_f32_16x16x16_bf16 v[36:39], a[148:149], a[76:77], v[36:39]// 0000000051A0: D3E10024 1C929994
	buffer_load_dword v19, s[20:23], 0 offen offset:512 lds    // 0000000051A8: E0511200 80050013
	s_add_u32 m0, 0x280, s34                                   // 0000000051B0: 807C22FF 00000280
	v_mfma_f32_16x16x16_bf16 v[36:39], a[150:151], a[78:79], v[36:39]// 0000000051B8: D3E10024 1C929D96
	v_mfma_f32_16x16x16_bf16 v[36:39], a[152:153], a[80:81], v[36:39]// 0000000051C0: D3E10024 1C92A198
	buffer_load_dword v18, s[20:23], 0 offen offset:640 lds    // 0000000051C8: E0511280 80050012
	s_add_u32 m0, 0x280, s35                                   // 0000000051D0: 807C23FF 00000280
	v_mfma_f32_16x16x16_bf16 v[36:39], a[154:155], a[82:83], v[36:39]// 0000000051D8: D3E10024 1C92A59A
	v_mfma_f32_16x16x16_bf16 v[36:39], a[156:157], a[84:85], v[36:39]// 0000000051E0: D3E10024 1C92A99C
	s_waitcnt lgkmcnt(0)                                       // 0000000051E8: BF8CC07F
	ds_read_b32 v20, v2 offset:53504                           // 0000000051EC: D86CD100 14000002
	ds_read_b32 v21, v2 offset:53568                           // 0000000051F4: D86CD140 15000002
	v_mfma_f32_16x16x16_bf16 v[36:39], a[158:159], a[86:87], v[36:39]// 0000000051FC: D3E10024 1C92AD9E
	ds_read_b32 v22, v2 offset:53632                           // 000000005204: D86CD180 16000002
	ds_read_b32 v23, v2 offset:53696                           // 00000000520C: D86CD1C0 17000002
	v_mfma_f32_16x16x16_bf16 v[36:39], a[160:161], a[88:89], v[36:39]// 000000005214: D3E10024 1C92B1A0
	buffer_load_dword v19, s[20:23], 0 offen offset:640 lds    // 00000000521C: E0511280 80050013
	s_add_u32 m0, 0x300, s34                                   // 000000005224: 807C22FF 00000300
	v_mfma_f32_16x16x16_bf16 v[36:39], a[162:163], a[90:91], v[36:39]// 00000000522C: D3E10024 1C92B5A2
	v_mfma_f32_16x16x16_bf16 v[36:39], a[164:165], a[92:93], v[36:39]// 000000005234: D3E10024 1C92B9A4
	buffer_load_dword v18, s[20:23], 0 offen offset:768 lds    // 00000000523C: E0511300 80050012
	s_add_u32 m0, 0x300, s35                                   // 000000005244: 807C23FF 00000300
	v_mfma_f32_16x16x16_bf16 v[36:39], a[166:167], a[94:95], v[36:39]// 00000000524C: D3E10024 1C92BDA6
	v_mfma_f32_16x16x16_bf16 v[36:39], a[168:169], a[96:97], v[36:39]// 000000005254: D3E10024 1C92C1A8
	buffer_load_dword v19, s[20:23], 0 offen offset:768 lds    // 00000000525C: E0511300 80050013
	s_add_u32 m0, 0x380, s34                                   // 000000005264: 807C22FF 00000380
	v_mfma_f32_16x16x16_bf16 v[36:39], a[170:171], a[98:99], v[36:39]// 00000000526C: D3E10024 1C92C5AA
	v_mfma_f32_16x16x16_bf16 v[36:39], a[172:173], a[100:101], v[36:39]// 000000005274: D3E10024 1C92C9AC
	s_waitcnt lgkmcnt(0)                                       // 00000000527C: BF8CC07F
	v_max3_f32 v24, v20, v21, v24                              // 000000005280: D1D30018 04622B14
	v_max3_f32 v24, v22, v23, v24                              // 000000005288: D1D30018 04622F16
	v_mfma_f32_16x16x16_bf16 v[36:39], a[174:175], a[102:103], v[36:39]// 000000005290: D3E10024 1C92CDAE
	v_mfma_f32_16x16x16_bf16 v[36:39], a[176:177], a[104:105], v[36:39]// 000000005298: D3E10024 1C92D1B0
	buffer_load_dword v18, s[20:23], 0 offen offset:896 lds    // 0000000052A0: E0511380 80050012
	s_add_u32 m0, 0x380, s35                                   // 0000000052A8: 807C23FF 00000380
	v_mfma_f32_16x16x16_bf16 v[36:39], a[178:179], a[106:107], v[36:39]// 0000000052B0: D3E10024 1C92D5B2
	v_mfma_f32_16x16x16_bf16 v[36:39], a[180:181], a[108:109], v[36:39]// 0000000052B8: D3E10024 1C92D9B4
	buffer_load_dword v19, s[20:23], 0 offen offset:896 lds    // 0000000052C0: E0511380 80050013
	s_add_u32 m0, 0x400, s34                                   // 0000000052C8: 807C22FF 00000400
	v_mfma_f32_16x16x16_bf16 v[36:39], a[182:183], a[110:111], v[36:39]// 0000000052D0: D3E10024 1C92DDB6
	v_mfma_f32_16x16x16_bf16 v[36:39], a[184:185], a[112:113], v[36:39]// 0000000052D8: D3E10024 1C92E1B8
	buffer_load_dword v18, s[20:23], 0 offen offset:1024 lds   // 0000000052E0: E0511400 80050012
	s_add_u32 m0, 0x400, s35                                   // 0000000052E8: 807C23FF 00000400
	v_mfma_f32_16x16x16_bf16 v[36:39], a[186:187], a[114:115], v[36:39]// 0000000052F0: D3E10024 1C92E5BA
	ds_read_b128 a[144:147], v7 offset:37120                   // 0000000052F8: DBFE9100 90000007
	ds_read_b128 a[148:151], v7 offset:38144                   // 000000005300: DBFE9500 94000007
	v_mfma_f32_16x16x16_bf16 v[36:39], a[188:189], a[116:117], v[36:39]// 000000005308: D3E10024 1C92E9BC
	v_mfma_f32_16x16x16_bf16 v[36:39], a[190:191], a[118:119], v[36:39]// 000000005310: D3E10024 1C92EDBE
	v_mfma_f32_16x16x16_bf16 v[36:39], a[192:193], a[120:121], v[36:39]// 000000005318: D3E10024 1C92F1C0
	buffer_load_dword v19, s[20:23], 0 offen offset:1024 lds   // 000000005320: E0511400 80050013
	s_add_u32 m0, 0x480, s34                                   // 000000005328: 807C22FF 00000480
	v_mfma_f32_16x16x16_bf16 v[36:39], a[194:195], a[122:123], v[36:39]// 000000005330: D3E10024 1C92F5C2
	ds_read_b128 a[152:155], v7 offset:39168                   // 000000005338: DBFE9900 98000007
	ds_read_b128 a[156:159], v7 offset:40192                   // 000000005340: DBFE9D00 9C000007
	v_mfma_f32_16x16x16_bf16 v[36:39], a[196:197], a[124:125], v[36:39]// 000000005348: D3E10024 1C92F9C4
	v_mfma_f32_16x16x16_bf16 v[36:39], a[198:199], a[126:127], v[36:39]// 000000005350: D3E10024 1C92FDC6
	v_mfma_f32_16x16x16_bf16 v[36:39], a[200:201], a[128:129], v[36:39]// 000000005358: D3E10024 1C9301C8
	v_mfma_f32_16x16x16_bf16 v[36:39], a[202:203], a[130:131], v[36:39]// 000000005360: D3E10024 1C9305CA
	ds_read_b128 a[160:163], v7 offset:41216                   // 000000005368: DBFEA100 A0000007
	ds_read_b128 a[164:167], v7 offset:42240                   // 000000005370: DBFEA500 A4000007
	v_mfma_f32_16x16x16_bf16 v[36:39], a[204:205], a[132:133], v[36:39]// 000000005378: D3E10024 1C9309CC
	v_mfma_f32_16x16x16_bf16 v[36:39], a[206:207], a[134:135], v[36:39]// 000000005380: D3E10024 1C930DCE
	v_mfma_f32_16x16x16_bf16 v[36:39], a[208:209], a[136:137], v[36:39]// 000000005388: D3E10024 1C9311D0
	v_mfma_f32_16x16x16_bf16 v[36:39], a[210:211], a[138:139], v[36:39]// 000000005390: D3E10024 1C9315D2
	ds_read_b128 a[168:171], v7 offset:43264                   // 000000005398: DBFEA900 A8000007
	ds_read_b128 a[172:175], v7 offset:44288                   // 0000000053A0: DBFEAD00 AC000007
	v_mfma_f32_16x16x16_bf16 v[36:39], a[212:213], a[140:141], v[36:39]// 0000000053A8: D3E10024 1C9319D4
	v_mfma_f32_16x16x16_bf16 v[36:39], a[214:215], a[142:143], v[36:39]// 0000000053B0: D3E10024 1C931DD6
	v_mov_b32_e32 v25, 0xff7fffff                              // 0000000053B8: 7E3202FF FF7FFFFF
	v_cmp_eq_u32_e64 s[38:39], v25, v12                        // 0000000053C0: D0CA0026 00021919
	v_max_f32_e32 v20, v24, v12                                // 0000000053C8: 16281918
	v_sub_f32_e32 v16, v12, v20                                // 0000000053CC: 0420290C
	v_cndmask_b32_e64 v16, v16, 0, s[38:39]                    // 0000000053D0: D1000010 00990110
	v_mov_b32_e32 v12, v20                                     // 0000000053D8: 7E180314
	v_mul_f32_e32 v21, s5, v20                                 // 0000000053DC: 0A2A2805
	v_mul_f32_e32 v16, s5, v16                                 // 0000000053E0: 0A202005
	v_exp_f32_e32 v16, v16                                     // 0000000053E4: 7E204110
	v_fma_f32 v32, v32, s5, -v21                               // 0000000053E8: D1CB0020 84540B20
	v_fma_f32 v33, v33, s5, -v21                               // 0000000053F0: D1CB0021 84540B21
	v_fma_f32 v34, v34, s5, -v21                               // 0000000053F8: D1CB0022 84540B22
	v_fma_f32 v35, v35, s5, -v21                               // 000000005400: D1CB0023 84540B23
	v_exp_f32_e32 v32, v32                                     // 000000005408: 7E404120
	v_exp_f32_e32 v33, v33                                     // 00000000540C: 7E424121
	v_exp_f32_e32 v34, v34                                     // 000000005410: 7E444122
	v_exp_f32_e32 v35, v35                                     // 000000005414: 7E464123
	v_mul_f32_e32 v14, v16, v14                                // 000000005418: 0A1C1D10
	v_mov_b32_e32 v22, v32                                     // 00000000541C: 7E2C0320
	v_add_f32_e32 v22, v33, v22                                // 000000005420: 022C2D21
	v_add_f32_e32 v22, v34, v22                                // 000000005424: 022C2D22
	v_add_f32_e32 v22, v35, v22                                // 000000005428: 022C2D23
	v_add_f32_e32 v14, v22, v14                                // 00000000542C: 021C1D16
	v_mov_b32_e32 v29, 0xffff0000                              // 000000005430: 7E3A02FF FFFF0000
	v_mov_b32_e32 v30, 0x7fff0000                              // 000000005438: 7E3C02FF 7FFF0000
	v_mov_b32_e32 v31, 0x7fff                                  // 000000005440: 7E3E02FF 00007FFF
	v_cmp_u_f32_e64 s[38:39], v32, v32                         // 000000005448: D0480026 00024120
	v_add3_u32 v28, v32, v31, 1                                // 000000005450: D1FF001C 02063F20
	v_cndmask_b32_e64 v20, v28, v30, s[38:39]                  // 000000005458: D1000014 009A3D1C
	v_cmp_u_f32_e64 s[38:39], v33, v33                         // 000000005460: D0480026 00024321
	v_add3_u32 v28, v33, v31, 1                                // 000000005468: D1FF001C 02063F21
	v_cndmask_b32_e64 v21, v28, v30, s[38:39]                  // 000000005470: D1000015 009A3D1C
	v_perm_b32 v32, v21, v20, s52                              // 000000005478: D1ED0020 00D22915
	v_cmp_u_f32_e64 s[38:39], v34, v34                         // 000000005480: D0480026 00024522
	v_add3_u32 v28, v34, v31, 1                                // 000000005488: D1FF001C 02063F22
	v_cndmask_b32_e64 v20, v28, v30, s[38:39]                  // 000000005490: D1000014 009A3D1C
	v_cmp_u_f32_e64 s[38:39], v35, v35                         // 000000005498: D0480026 00024723
	v_add3_u32 v28, v35, v31, 1                                // 0000000054A0: D1FF001C 02063F23
	v_cndmask_b32_e64 v21, v28, v30, s[38:39]                  // 0000000054A8: D1000015 009A3D1C
	v_perm_b32 v33, v21, v20, s52                              // 0000000054B0: D1ED0021 00D22915
	s_nop 2                                                    // 0000000054B8: BF800002
	s_cmp_le_i32 s83, s82                                      // 0000000054BC: BF055253
	s_cbranch_scc1 label_1153                                  // 0000000054C0: BF850022
	v_mov_b32_e32 v25, 0xff800000                              // 0000000054C4: 7E3202FF FF800000
	v_mov_b32_e32 v24, s82                                     // 0000000054CC: 7E300252
	s_sub_u32 s56, s83, 15                                     // 0000000054D0: 80B88F53
	v_lshrrev_b32_e32 v20, 4, v0                               // 0000000054D4: 20280084
	v_mul_i32_i24_e32 v20, 4, v20                              // 0000000054D8: 0C282884
	v_add_u32_e32 v20, s56, v20                                // 0000000054DC: 68282838
	v_add_u32_e32 v21, 1, v20                                  // 0000000054E0: 682A2881
	v_add_u32_e32 v22, 2, v20                                  // 0000000054E4: 682C2882
	v_add_u32_e32 v23, 3, v20                                  // 0000000054E8: 682E2883
	v_cmp_le_u32_e64 s[38:39], v20, v24                        // 0000000054EC: D0CB0026 00023114
	v_add_u32_e32 v20, 64, v20                                 // 0000000054F4: 682828C0
	s_nop 0                                                    // 0000000054F8: BF800000
	v_cndmask_b32_e64 v36, v25, v36, s[38:39]                  // 0000000054FC: D1000024 009A4919
	v_cmp_le_u32_e64 s[38:39], v21, v24                        // 000000005504: D0CB0026 00023115
	v_add_u32_e32 v21, 64, v21                                 // 00000000550C: 682A2AC0
	s_nop 0                                                    // 000000005510: BF800000
	v_cndmask_b32_e64 v37, v25, v37, s[38:39]                  // 000000005514: D1000025 009A4B19
	v_cmp_le_u32_e64 s[38:39], v22, v24                        // 00000000551C: D0CB0026 00023116
	v_add_u32_e32 v22, 64, v22                                 // 000000005524: 682C2CC0
	s_nop 0                                                    // 000000005528: BF800000
	v_cndmask_b32_e64 v38, v25, v38, s[38:39]                  // 00000000552C: D1000026 009A4D19
	v_cmp_le_u32_e64 s[38:39], v23, v24                        // 000000005534: D0CB0026 00023117
	v_add_u32_e32 v23, 64, v23                                 // 00000000553C: 682E2EC0
	s_nop 0                                                    // 000000005540: BF800000
	v_cndmask_b32_e64 v39, v25, v39, s[38:39]                  // 000000005544: D1000027 009A4F19

000000000000554c <label_1153>:
	s_add_u32 s83, s84, s83                                    // 00000000554C: 80535354
	s_nop 0                                                    // 000000005550: BF800000
	v_mul_u32_u24_dpp v18, v11, v9 row_newbcast:0 row_mask:0xf bank_mask:0xf// 000000005554: 102412FA FF01500B
	v_mul_u32_u24_dpp v19, v11, v9 row_newbcast:8 row_mask:0xf bank_mask:0xf// 00000000555C: 102612FA FF01580B
	v_add_u32_e32 v18, v18, v1                                 // 000000005564: 68240312
	v_add_u32_e32 v19, v19, v1                                 // 000000005568: 68260313
	s_mov_b32 m0, s36                                          // 00000000556C: BEFC0024
	v_mov_b32_e32 v22, v16                                     // 000000005570: 7E2C0310
	v_mov_b32_e32 v23, v16                                     // 000000005574: 7E2E0310
	v_pk_mul_f32 v[40:41], v[22:23], v[40:41]                  // 000000005578: D3B14028 18025116
	v_pk_mul_f32 v[42:43], v[22:23], v[42:43]                  // 000000005580: D3B1402A 18025516
	v_pk_mul_f32 v[44:45], v[22:23], v[44:45]                  // 000000005588: D3B1402C 18025916
	v_pk_mul_f32 v[46:47], v[22:23], v[46:47]                  // 000000005590: D3B1402E 18025D16
	v_pk_mul_f32 v[48:49], v[22:23], v[48:49]                  // 000000005598: D3B14030 18026116
	v_pk_mul_f32 v[50:51], v[22:23], v[50:51]                  // 0000000055A0: D3B14032 18026516
	v_pk_mul_f32 v[52:53], v[22:23], v[52:53]                  // 0000000055A8: D3B14034 18026916
	v_pk_mul_f32 v[54:55], v[22:23], v[54:55]                  // 0000000055B0: D3B14036 18026D16
	v_pk_mul_f32 v[56:57], v[22:23], v[56:57]                  // 0000000055B8: D3B14038 18027116
	v_pk_mul_f32 v[58:59], v[22:23], v[58:59]                  // 0000000055C0: D3B1403A 18027516
	v_pk_mul_f32 v[60:61], v[22:23], v[60:61]                  // 0000000055C8: D3B1403C 18027916
	v_pk_mul_f32 v[62:63], v[22:23], v[62:63]                  // 0000000055D0: D3B1403E 18027D16
	v_pk_mul_f32 v[64:65], v[22:23], v[64:65]                  // 0000000055D8: D3B14040 18028116
	v_pk_mul_f32 v[66:67], v[22:23], v[66:67]                  // 0000000055E0: D3B14042 18028516
	v_pk_mul_f32 v[68:69], v[22:23], v[68:69]                  // 0000000055E8: D3B14044 18028916
	v_pk_mul_f32 v[70:71], v[22:23], v[70:71]                  // 0000000055F0: D3B14046 18028D16
	v_pk_mul_f32 v[72:73], v[22:23], v[72:73]                  // 0000000055F8: D3B14048 18029116
	v_pk_mul_f32 v[74:75], v[22:23], v[74:75]                  // 000000005600: D3B1404A 18029516
	v_pk_mul_f32 v[76:77], v[22:23], v[76:77]                  // 000000005608: D3B1404C 18029916
	v_pk_mul_f32 v[78:79], v[22:23], v[78:79]                  // 000000005610: D3B1404E 18029D16
	v_pk_mul_f32 v[80:81], v[22:23], v[80:81]                  // 000000005618: D3B14050 1802A116
	v_pk_mul_f32 v[82:83], v[22:23], v[82:83]                  // 000000005620: D3B14052 1802A516
	v_pk_mul_f32 v[84:85], v[22:23], v[84:85]                  // 000000005628: D3B14054 1802A916
	v_pk_mul_f32 v[86:87], v[22:23], v[86:87]                  // 000000005630: D3B14056 1802AD16
	v_pk_mul_f32 v[88:89], v[22:23], v[88:89]                  // 000000005638: D3B14058 1802B116
	v_pk_mul_f32 v[90:91], v[22:23], v[90:91]                  // 000000005640: D3B1405A 1802B516
	v_pk_mul_f32 v[92:93], v[22:23], v[92:93]                  // 000000005648: D3B1405C 1802B916
	v_pk_mul_f32 v[94:95], v[22:23], v[94:95]                  // 000000005650: D3B1405E 1802BD16
	v_pk_mul_f32 v[96:97], v[22:23], v[96:97]                  // 000000005658: D3B14060 1802C116
	v_pk_mul_f32 v[98:99], v[22:23], v[98:99]                  // 000000005660: D3B14062 1802C516
	v_pk_mul_f32 v[100:101], v[22:23], v[100:101]              // 000000005668: D3B14064 1802C916
	v_pk_mul_f32 v[102:103], v[22:23], v[102:103]              // 000000005670: D3B14066 1802CD16
	v_pk_mul_f32 v[104:105], v[22:23], v[104:105]              // 000000005678: D3B14068 1802D116
	v_pk_mul_f32 v[106:107], v[22:23], v[106:107]              // 000000005680: D3B1406A 1802D516
	v_pk_mul_f32 v[108:109], v[22:23], v[108:109]              // 000000005688: D3B1406C 1802D916
	v_pk_mul_f32 v[110:111], v[22:23], v[110:111]              // 000000005690: D3B1406E 1802DD16
	v_pk_mul_f32 v[112:113], v[22:23], v[112:113]              // 000000005698: D3B14070 1802E116
	v_pk_mul_f32 v[114:115], v[22:23], v[114:115]              // 0000000056A0: D3B14072 1802E516
	v_pk_mul_f32 v[116:117], v[22:23], v[116:117]              // 0000000056A8: D3B14074 1802E916
	v_pk_mul_f32 v[118:119], v[22:23], v[118:119]              // 0000000056B0: D3B14076 1802ED16
	v_pk_mul_f32 v[120:121], v[22:23], v[120:121]              // 0000000056B8: D3B14078 1802F116
	v_pk_mul_f32 v[122:123], v[22:23], v[122:123]              // 0000000056C0: D3B1407A 1802F516
	v_pk_mul_f32 v[124:125], v[22:23], v[124:125]              // 0000000056C8: D3B1407C 1802F916
	v_pk_mul_f32 v[126:127], v[22:23], v[126:127]              // 0000000056D0: D3B1407E 1802FD16
	v_pk_mul_f32 v[128:129], v[22:23], v[128:129]              // 0000000056D8: D3B14080 18030116
	v_pk_mul_f32 v[130:131], v[22:23], v[130:131]              // 0000000056E0: D3B14082 18030516
	v_pk_mul_f32 v[132:133], v[22:23], v[132:133]              // 0000000056E8: D3B14084 18030916
	v_pk_mul_f32 v[134:135], v[22:23], v[134:135]              // 0000000056F0: D3B14086 18030D16
	v_pk_mul_f32 v[136:137], v[22:23], v[136:137]              // 0000000056F8: D3B14088 18031116
	v_pk_mul_f32 v[138:139], v[22:23], v[138:139]              // 000000005700: D3B1408A 18031516
	v_pk_mul_f32 v[140:141], v[22:23], v[140:141]              // 000000005708: D3B1408C 18031916
	v_pk_mul_f32 v[142:143], v[22:23], v[142:143]              // 000000005710: D3B1408E 18031D16
	v_pk_mul_f32 v[144:145], v[22:23], v[144:145]              // 000000005718: D3B14090 18032116
	v_pk_mul_f32 v[146:147], v[22:23], v[146:147]              // 000000005720: D3B14092 18032516
	v_accvgpr_read_b32 v20, a216                               // 000000005728: D3D84014 180001D8
	v_accvgpr_read_b32 v21, a217                               // 000000005730: D3D84015 180001D9
	v_pk_mul_f32 v[20:21], v[22:23], v[20:21]                  // 000000005738: D3B14014 18022916
	v_accvgpr_write_b32 a216, v20                              // 000000005740: D3D940D8 18000114
	v_accvgpr_write_b32 a217, v21                              // 000000005748: D3D940D9 18000115
	v_accvgpr_read_b32 v20, a218                               // 000000005750: D3D84014 180001DA
	v_accvgpr_read_b32 v21, a219                               // 000000005758: D3D84015 180001DB
	v_pk_mul_f32 v[20:21], v[22:23], v[20:21]                  // 000000005760: D3B14014 18022916
	v_accvgpr_write_b32 a218, v20                              // 000000005768: D3D940DA 18000114
	v_accvgpr_write_b32 a219, v21                              // 000000005770: D3D940DB 18000115
	v_accvgpr_read_b32 v20, a220                               // 000000005778: D3D84014 180001DC
	v_accvgpr_read_b32 v21, a221                               // 000000005780: D3D84015 180001DD
	v_pk_mul_f32 v[20:21], v[22:23], v[20:21]                  // 000000005788: D3B14014 18022916
	v_accvgpr_write_b32 a220, v20                              // 000000005790: D3D940DC 18000114
	v_accvgpr_write_b32 a221, v21                              // 000000005798: D3D940DD 18000115
	v_accvgpr_read_b32 v20, a222                               // 0000000057A0: D3D84014 180001DE
	v_accvgpr_read_b32 v21, a223                               // 0000000057A8: D3D84015 180001DF
	v_pk_mul_f32 v[20:21], v[22:23], v[20:21]                  // 0000000057B0: D3B14014 18022916
	v_accvgpr_write_b32 a222, v20                              // 0000000057B8: D3D940DE 18000114
	v_accvgpr_write_b32 a223, v21                              // 0000000057C0: D3D940DF 18000115
	v_accvgpr_read_b32 v20, a224                               // 0000000057C8: D3D84014 180001E0
	v_accvgpr_read_b32 v21, a225                               // 0000000057D0: D3D84015 180001E1
	v_pk_mul_f32 v[20:21], v[22:23], v[20:21]                  // 0000000057D8: D3B14014 18022916
	v_accvgpr_write_b32 a224, v20                              // 0000000057E0: D3D940E0 18000114
	v_accvgpr_write_b32 a225, v21                              // 0000000057E8: D3D940E1 18000115
	v_accvgpr_read_b32 v20, a226                               // 0000000057F0: D3D84014 180001E2
	v_accvgpr_read_b32 v21, a227                               // 0000000057F8: D3D84015 180001E3
	v_pk_mul_f32 v[20:21], v[22:23], v[20:21]                  // 000000005800: D3B14014 18022916
	v_accvgpr_write_b32 a226, v20                              // 000000005808: D3D940E2 18000114
	v_accvgpr_write_b32 a227, v21                              // 000000005810: D3D940E3 18000115
	v_accvgpr_read_b32 v20, a228                               // 000000005818: D3D84014 180001E4
	v_accvgpr_read_b32 v21, a229                               // 000000005820: D3D84015 180001E5
	v_pk_mul_f32 v[20:21], v[22:23], v[20:21]                  // 000000005828: D3B14014 18022916
	v_accvgpr_write_b32 a228, v20                              // 000000005830: D3D940E4 18000114
	v_accvgpr_write_b32 a229, v21                              // 000000005838: D3D940E5 18000115
	v_accvgpr_read_b32 v20, a230                               // 000000005840: D3D84014 180001E6
	v_accvgpr_read_b32 v21, a231                               // 000000005848: D3D84015 180001E7
	v_pk_mul_f32 v[20:21], v[22:23], v[20:21]                  // 000000005850: D3B14014 18022916
	v_accvgpr_write_b32 a230, v20                              // 000000005858: D3D940E6 18000114
	v_accvgpr_write_b32 a231, v21                              // 000000005860: D3D940E7 18000115
	v_accvgpr_read_b32 v20, a232                               // 000000005868: D3D84014 180001E8
	v_accvgpr_read_b32 v21, a233                               // 000000005870: D3D84015 180001E9
	v_pk_mul_f32 v[20:21], v[22:23], v[20:21]                  // 000000005878: D3B14014 18022916
	v_accvgpr_write_b32 a232, v20                              // 000000005880: D3D940E8 18000114
	v_accvgpr_write_b32 a233, v21                              // 000000005888: D3D940E9 18000115
	v_accvgpr_read_b32 v20, a234                               // 000000005890: D3D84014 180001EA
	v_accvgpr_read_b32 v21, a235                               // 000000005898: D3D84015 180001EB
	v_pk_mul_f32 v[20:21], v[22:23], v[20:21]                  // 0000000058A0: D3B14014 18022916
	v_accvgpr_write_b32 a234, v20                              // 0000000058A8: D3D940EA 18000114
	v_accvgpr_write_b32 a235, v21                              // 0000000058B0: D3D940EB 18000115
	s_waitcnt lgkmcnt(0)                                       // 0000000058B8: BF8CC07F
	v_mfma_f32_16x16x16_bf16 v[40:43], a[144:145], v[32:33], v[40:43]// 0000000058BC: D3E10028 0CA24190
	v_mfma_f32_16x16x16_bf16 v[44:47], a[146:147], v[32:33], v[44:47]// 0000000058C4: D3E1002C 0CB24192
	ds_read_b128 a[176:179], v7 offset:45312                   // 0000000058CC: DBFEB100 B0000007
	ds_read_b128 a[180:183], v7 offset:46336                   // 0000000058D4: DBFEB500 B4000007
	v_mfma_f32_16x16x16_bf16 v[48:51], a[148:149], v[32:33], v[48:51]// 0000000058DC: D3E10030 0CC24194
	v_mfma_f32_16x16x16_bf16 v[52:55], a[150:151], v[32:33], v[52:55]// 0000000058E4: D3E10034 0CD24196
	v_mfma_f32_16x16x16_bf16 v[56:59], a[152:153], v[32:33], v[56:59]// 0000000058EC: D3E10038 0CE24198
	v_mfma_f32_16x16x16_bf16 v[60:63], a[154:155], v[32:33], v[60:63]// 0000000058F4: D3E1003C 0CF2419A
	ds_read_b128 a[184:187], v7 offset:47360                   // 0000000058FC: DBFEB900 B8000007
	ds_read_b128 a[188:191], v7 offset:48384                   // 000000005904: DBFEBD00 BC000007
	v_mfma_f32_16x16x16_bf16 v[64:67], a[156:157], v[32:33], v[64:67]// 00000000590C: D3E10040 0D02419C
	v_mfma_f32_16x16x16_bf16 v[68:71], a[158:159], v[32:33], v[68:71]// 000000005914: D3E10044 0D12419E
	v_mfma_f32_16x16x16_bf16 v[72:75], a[160:161], v[32:33], v[72:75]// 00000000591C: D3E10048 0D2241A0
	v_mfma_f32_16x16x16_bf16 v[76:79], a[162:163], v[32:33], v[76:79]// 000000005924: D3E1004C 0D3241A2
	ds_read_b128 a[192:195], v7 offset:49408                   // 00000000592C: DBFEC100 C0000007
	ds_read_b128 a[196:199], v7 offset:50432                   // 000000005934: DBFEC500 C4000007
	v_mfma_f32_16x16x16_bf16 v[80:83], a[164:165], v[32:33], v[80:83]// 00000000593C: D3E10050 0D4241A4
	v_mfma_f32_16x16x16_bf16 v[84:87], a[166:167], v[32:33], v[84:87]// 000000005944: D3E10054 0D5241A6
	v_mfma_f32_16x16x16_bf16 v[88:91], a[168:169], v[32:33], v[88:91]// 00000000594C: D3E10058 0D6241A8
	v_mfma_f32_16x16x16_bf16 v[92:95], a[170:171], v[32:33], v[92:95]// 000000005954: D3E1005C 0D7241AA
	ds_read_b128 a[200:203], v7 offset:51456                   // 00000000595C: DBFEC900 C8000007
	ds_read_b128 a[204:207], v7 offset:52480                   // 000000005964: DBFECD00 CC000007
	v_mfma_f32_16x16x16_bf16 v[96:99], a[172:173], v[32:33], v[96:99]// 00000000596C: D3E10060 0D8241AC
	v_mfma_f32_16x16x16_bf16 v[100:103], a[174:175], v[32:33], v[100:103]// 000000005974: D3E10064 0D9241AE
	s_waitcnt lgkmcnt(4)                                       // 00000000597C: BF8CC47F
	v_mfma_f32_16x16x16_bf16 v[104:107], a[176:177], v[32:33], v[104:107]// 000000005980: D3E10068 0DA241B0
	v_max3_f32 v24, v36, v37, v36                              // 000000005988: D1D30018 04924B24
	v_max3_f32 v24, v38, v39, v24                              // 000000005990: D1D30018 04624F26
	ds_write_b32 v3, v24 offset:54528                          // 000000005998: D81AD500 00001803
	v_mfma_f32_16x16x16_bf16 v[108:111], a[178:179], v[32:33], v[108:111]// 0000000059A0: D3E1006C 0DB241B2
	v_mfma_f32_16x16x16_bf16 v[112:115], a[180:181], v[32:33], v[112:115]// 0000000059A8: D3E10070 0DC241B4
	v_mfma_f32_16x16x16_bf16 v[116:119], a[182:183], v[32:33], v[116:119]// 0000000059B0: D3E10074 0DD241B6
	v_mfma_f32_16x16x16_bf16 v[120:123], a[184:185], v[32:33], v[120:123]// 0000000059B8: D3E10078 0DE241B8
	v_mfma_f32_16x16x16_bf16 v[124:127], a[186:187], v[32:33], v[124:127]// 0000000059C0: D3E1007C 0DF241BA
	v_mfma_f32_16x16x16_bf16 v[128:131], a[188:189], v[32:33], v[128:131]// 0000000059C8: D3E10080 0E0241BC
	v_mfma_f32_16x16x16_bf16 v[132:135], a[190:191], v[32:33], v[132:135]// 0000000059D0: D3E10084 0E1241BE
	s_waitcnt lgkmcnt(0)                                       // 0000000059D8: BF8CC07F
	v_mfma_f32_16x16x16_bf16 v[136:139], a[192:193], v[32:33], v[136:139]// 0000000059DC: D3E10088 0E2241C0
	s_waitcnt lgkmcnt(0)                                       // 0000000059E4: BF8CC07F
	ds_read_b32 v20, v2 offset:54528                           // 0000000059E8: D86CD500 14000002
	ds_read_b32 v21, v2 offset:54592                           // 0000000059F0: D86CD540 15000002
	v_mfma_f32_16x16x16_bf16 v[140:143], a[194:195], v[32:33], v[140:143]// 0000000059F8: D3E1008C 0E3241C2
	ds_read_b32 v22, v2 offset:54656                           // 000000005A00: D86CD580 16000002
	ds_read_b32 v23, v2 offset:54720                           // 000000005A08: D86CD5C0 17000002
	v_mfma_f32_16x16x16_bf16 v[144:147], a[196:197], v[32:33], v[144:147]// 000000005A10: D3E10090 0E4241C4
	v_mfma_f32_16x16x16_bf16 a[216:219], a[198:199], v[32:33], a[216:219]// 000000005A18: D3E180D8 0F6241C6
	v_mfma_f32_16x16x16_bf16 a[220:223], a[200:201], v[32:33], a[220:223]// 000000005A20: D3E180DC 0F7241C8
	v_mfma_f32_16x16x16_bf16 a[224:227], a[202:203], v[32:33], a[224:227]// 000000005A28: D3E180E0 0F8241CA
	v_mfma_f32_16x16x16_bf16 a[228:231], a[204:205], v[32:33], a[228:231]// 000000005A30: D3E180E4 0F9241CC
	v_mfma_f32_16x16x16_bf16 a[232:235], a[206:207], v[32:33], a[232:235]// 000000005A38: D3E180E8 0FA241CE
	s_waitcnt lgkmcnt(0)                                       // 000000005A40: BF8CC07F
	v_max3_f32 v24, v20, v21, v24                              // 000000005A44: D1D30018 04622B14
	v_max3_f32 v24, v22, v23, v24                              // 000000005A4C: D1D30018 04622F16
	v_mov_b32_e32 v25, 0xff7fffff                              // 000000005A54: 7E3202FF FF7FFFFF
	v_cmp_eq_u32_e64 s[38:39], v25, v13                        // 000000005A5C: D0CA0026 00021B19
	v_max_f32_e32 v20, v24, v13                                // 000000005A64: 16281B18
	v_sub_f32_e32 v17, v13, v20                                // 000000005A68: 0422290D
	v_cndmask_b32_e64 v17, v17, 0, s[38:39]                    // 000000005A6C: D1000011 00990111
	v_mov_b32_e32 v13, v20                                     // 000000005A74: 7E1A0314
	v_mul_f32_e32 v21, s5, v20                                 // 000000005A78: 0A2A2805
	v_mul_f32_e32 v17, s5, v17                                 // 000000005A7C: 0A222205
	v_exp_f32_e32 v17, v17                                     // 000000005A80: 7E224111
	v_fma_f32 v36, v36, s5, -v21                               // 000000005A84: D1CB0024 84540B24
	v_fma_f32 v37, v37, s5, -v21                               // 000000005A8C: D1CB0025 84540B25
	v_fma_f32 v38, v38, s5, -v21                               // 000000005A94: D1CB0026 84540B26
	v_fma_f32 v39, v39, s5, -v21                               // 000000005A9C: D1CB0027 84540B27
	v_exp_f32_e32 v36, v36                                     // 000000005AA4: 7E484124
	v_exp_f32_e32 v37, v37                                     // 000000005AA8: 7E4A4125
	v_exp_f32_e32 v38, v38                                     // 000000005AAC: 7E4C4126
	v_exp_f32_e32 v39, v39                                     // 000000005AB0: 7E4E4127
	v_mul_f32_e32 v15, v17, v15                                // 000000005AB4: 0A1E1F11
	v_mov_b32_e32 v22, v36                                     // 000000005AB8: 7E2C0324
	v_add_f32_e32 v22, v37, v22                                // 000000005ABC: 022C2D25
	v_add_f32_e32 v22, v38, v22                                // 000000005AC0: 022C2D26
	v_add_f32_e32 v22, v39, v22                                // 000000005AC4: 022C2D27
	v_add_f32_e32 v15, v22, v15                                // 000000005AC8: 021E1F16
	v_mov_b32_e32 v29, 0xffff0000                              // 000000005ACC: 7E3A02FF FFFF0000
	v_mov_b32_e32 v30, 0x7fff0000                              // 000000005AD4: 7E3C02FF 7FFF0000
	v_mov_b32_e32 v31, 0x7fff                                  // 000000005ADC: 7E3E02FF 00007FFF
	v_cmp_u_f32_e64 s[38:39], v36, v36                         // 000000005AE4: D0480026 00024924
	v_add3_u32 v28, v36, v31, 1                                // 000000005AEC: D1FF001C 02063F24
	v_cndmask_b32_e64 v20, v28, v30, s[38:39]                  // 000000005AF4: D1000014 009A3D1C
	v_cmp_u_f32_e64 s[38:39], v37, v37                         // 000000005AFC: D0480026 00024B25
	v_add3_u32 v28, v37, v31, 1                                // 000000005B04: D1FF001C 02063F25
	v_cndmask_b32_e64 v21, v28, v30, s[38:39]                  // 000000005B0C: D1000015 009A3D1C
	v_perm_b32 v36, v21, v20, s52                              // 000000005B14: D1ED0024 00D22915
	v_cmp_u_f32_e64 s[38:39], v38, v38                         // 000000005B1C: D0480026 00024D26
	v_add3_u32 v28, v38, v31, 1                                // 000000005B24: D1FF001C 02063F26
	v_cndmask_b32_e64 v20, v28, v30, s[38:39]                  // 000000005B2C: D1000014 009A3D1C
	v_cmp_u_f32_e64 s[38:39], v39, v39                         // 000000005B34: D0480026 00024F27
	v_add3_u32 v28, v39, v31, 1                                // 000000005B3C: D1FF001C 02063F27
	v_cndmask_b32_e64 v21, v28, v30, s[38:39]                  // 000000005B44: D1000015 009A3D1C
	v_perm_b32 v37, v21, v20, s52                              // 000000005B4C: D1ED0025 00D22915
	s_nop 2                                                    // 000000005B54: BF800002
	v_mov_b32_e32 v22, v17                                     // 000000005B58: 7E2C0311
	v_mov_b32_e32 v23, v17                                     // 000000005B5C: 7E2E0311
	v_pk_mul_f32 v[148:149], v[22:23], v[148:149]              // 000000005B60: D3B14094 18032916
	v_pk_mul_f32 v[150:151], v[22:23], v[150:151]              // 000000005B68: D3B14096 18032D16
	v_pk_mul_f32 v[152:153], v[22:23], v[152:153]              // 000000005B70: D3B14098 18033116
	v_pk_mul_f32 v[154:155], v[22:23], v[154:155]              // 000000005B78: D3B1409A 18033516
	v_pk_mul_f32 v[156:157], v[22:23], v[156:157]              // 000000005B80: D3B1409C 18033916
	v_pk_mul_f32 v[158:159], v[22:23], v[158:159]              // 000000005B88: D3B1409E 18033D16
	v_pk_mul_f32 v[160:161], v[22:23], v[160:161]              // 000000005B90: D3B140A0 18034116
	v_pk_mul_f32 v[162:163], v[22:23], v[162:163]              // 000000005B98: D3B140A2 18034516
	v_pk_mul_f32 v[164:165], v[22:23], v[164:165]              // 000000005BA0: D3B140A4 18034916
	v_pk_mul_f32 v[166:167], v[22:23], v[166:167]              // 000000005BA8: D3B140A6 18034D16
	v_pk_mul_f32 v[168:169], v[22:23], v[168:169]              // 000000005BB0: D3B140A8 18035116
	v_pk_mul_f32 v[170:171], v[22:23], v[170:171]              // 000000005BB8: D3B140AA 18035516
	v_pk_mul_f32 v[172:173], v[22:23], v[172:173]              // 000000005BC0: D3B140AC 18035916
	v_pk_mul_f32 v[174:175], v[22:23], v[174:175]              // 000000005BC8: D3B140AE 18035D16
	v_pk_mul_f32 v[176:177], v[22:23], v[176:177]              // 000000005BD0: D3B140B0 18036116
	v_pk_mul_f32 v[178:179], v[22:23], v[178:179]              // 000000005BD8: D3B140B2 18036516
	v_pk_mul_f32 v[180:181], v[22:23], v[180:181]              // 000000005BE0: D3B140B4 18036916
	v_pk_mul_f32 v[182:183], v[22:23], v[182:183]              // 000000005BE8: D3B140B6 18036D16
	v_pk_mul_f32 v[184:185], v[22:23], v[184:185]              // 000000005BF0: D3B140B8 18037116
	v_pk_mul_f32 v[186:187], v[22:23], v[186:187]              // 000000005BF8: D3B140BA 18037516
	v_pk_mul_f32 v[188:189], v[22:23], v[188:189]              // 000000005C00: D3B140BC 18037916
	v_pk_mul_f32 v[190:191], v[22:23], v[190:191]              // 000000005C08: D3B140BE 18037D16
	v_pk_mul_f32 v[192:193], v[22:23], v[192:193]              // 000000005C10: D3B140C0 18038116
	v_pk_mul_f32 v[194:195], v[22:23], v[194:195]              // 000000005C18: D3B140C2 18038516
	v_pk_mul_f32 v[196:197], v[22:23], v[196:197]              // 000000005C20: D3B140C4 18038916
	v_pk_mul_f32 v[198:199], v[22:23], v[198:199]              // 000000005C28: D3B140C6 18038D16
	v_pk_mul_f32 v[200:201], v[22:23], v[200:201]              // 000000005C30: D3B140C8 18039116
	v_pk_mul_f32 v[202:203], v[22:23], v[202:203]              // 000000005C38: D3B140CA 18039516
	v_pk_mul_f32 v[204:205], v[22:23], v[204:205]              // 000000005C40: D3B140CC 18039916
	v_pk_mul_f32 v[206:207], v[22:23], v[206:207]              // 000000005C48: D3B140CE 18039D16
	v_pk_mul_f32 v[208:209], v[22:23], v[208:209]              // 000000005C50: D3B140D0 1803A116
	v_pk_mul_f32 v[210:211], v[22:23], v[210:211]              // 000000005C58: D3B140D2 1803A516
	v_pk_mul_f32 v[212:213], v[22:23], v[212:213]              // 000000005C60: D3B140D4 1803A916
	v_pk_mul_f32 v[214:215], v[22:23], v[214:215]              // 000000005C68: D3B140D6 1803AD16
	v_pk_mul_f32 v[216:217], v[22:23], v[216:217]              // 000000005C70: D3B140D8 1803B116
	v_pk_mul_f32 v[218:219], v[22:23], v[218:219]              // 000000005C78: D3B140DA 1803B516
	v_pk_mul_f32 v[220:221], v[22:23], v[220:221]              // 000000005C80: D3B140DC 1803B916
	v_pk_mul_f32 v[222:223], v[22:23], v[222:223]              // 000000005C88: D3B140DE 1803BD16
	v_pk_mul_f32 v[224:225], v[22:23], v[224:225]              // 000000005C90: D3B140E0 1803C116
	v_pk_mul_f32 v[226:227], v[22:23], v[226:227]              // 000000005C98: D3B140E2 1803C516
	v_pk_mul_f32 v[228:229], v[22:23], v[228:229]              // 000000005CA0: D3B140E4 1803C916
	v_pk_mul_f32 v[230:231], v[22:23], v[230:231]              // 000000005CA8: D3B140E6 1803CD16
	v_pk_mul_f32 v[232:233], v[22:23], v[232:233]              // 000000005CB0: D3B140E8 1803D116
	v_pk_mul_f32 v[234:235], v[22:23], v[234:235]              // 000000005CB8: D3B140EA 1803D516
	v_pk_mul_f32 v[236:237], v[22:23], v[236:237]              // 000000005CC0: D3B140EC 1803D916
	v_pk_mul_f32 v[238:239], v[22:23], v[238:239]              // 000000005CC8: D3B140EE 1803DD16
	v_pk_mul_f32 v[240:241], v[22:23], v[240:241]              // 000000005CD0: D3B140F0 1803E116
	v_pk_mul_f32 v[242:243], v[22:23], v[242:243]              // 000000005CD8: D3B140F2 1803E516
	v_pk_mul_f32 v[244:245], v[22:23], v[244:245]              // 000000005CE0: D3B140F4 1803E916
	v_pk_mul_f32 v[246:247], v[22:23], v[246:247]              // 000000005CE8: D3B140F6 1803ED16
	v_pk_mul_f32 v[248:249], v[22:23], v[248:249]              // 000000005CF0: D3B140F8 1803F116
	v_pk_mul_f32 v[250:251], v[22:23], v[250:251]              // 000000005CF8: D3B140FA 1803F516
	v_pk_mul_f32 v[252:253], v[22:23], v[252:253]              // 000000005D00: D3B140FC 1803F916
	v_pk_mul_f32 v[254:255], v[22:23], v[254:255]              // 000000005D08: D3B140FE 1803FD16
	v_accvgpr_read_b32 v20, a236                               // 000000005D10: D3D84014 180001EC
	v_accvgpr_read_b32 v21, a237                               // 000000005D18: D3D84015 180001ED
	v_pk_mul_f32 v[20:21], v[22:23], v[20:21]                  // 000000005D20: D3B14014 18022916
	v_accvgpr_write_b32 a236, v20                              // 000000005D28: D3D940EC 18000114
	v_accvgpr_write_b32 a237, v21                              // 000000005D30: D3D940ED 18000115
	v_accvgpr_read_b32 v20, a238                               // 000000005D38: D3D84014 180001EE
	v_accvgpr_read_b32 v21, a239                               // 000000005D40: D3D84015 180001EF
	v_pk_mul_f32 v[20:21], v[22:23], v[20:21]                  // 000000005D48: D3B14014 18022916
	v_accvgpr_write_b32 a238, v20                              // 000000005D50: D3D940EE 18000114
	v_accvgpr_write_b32 a239, v21                              // 000000005D58: D3D940EF 18000115
	v_accvgpr_read_b32 v20, a240                               // 000000005D60: D3D84014 180001F0
	v_accvgpr_read_b32 v21, a241                               // 000000005D68: D3D84015 180001F1
	v_pk_mul_f32 v[20:21], v[22:23], v[20:21]                  // 000000005D70: D3B14014 18022916
	v_accvgpr_write_b32 a240, v20                              // 000000005D78: D3D940F0 18000114
	v_accvgpr_write_b32 a241, v21                              // 000000005D80: D3D940F1 18000115
	v_accvgpr_read_b32 v20, a242                               // 000000005D88: D3D84014 180001F2
	v_accvgpr_read_b32 v21, a243                               // 000000005D90: D3D84015 180001F3
	v_pk_mul_f32 v[20:21], v[22:23], v[20:21]                  // 000000005D98: D3B14014 18022916
	v_accvgpr_write_b32 a242, v20                              // 000000005DA0: D3D940F2 18000114
	v_accvgpr_write_b32 a243, v21                              // 000000005DA8: D3D940F3 18000115
	v_accvgpr_read_b32 v20, a244                               // 000000005DB0: D3D84014 180001F4
	v_accvgpr_read_b32 v21, a245                               // 000000005DB8: D3D84015 180001F5
	v_pk_mul_f32 v[20:21], v[22:23], v[20:21]                  // 000000005DC0: D3B14014 18022916
	v_accvgpr_write_b32 a244, v20                              // 000000005DC8: D3D940F4 18000114
	v_accvgpr_write_b32 a245, v21                              // 000000005DD0: D3D940F5 18000115
	v_accvgpr_read_b32 v20, a246                               // 000000005DD8: D3D84014 180001F6
	v_accvgpr_read_b32 v21, a247                               // 000000005DE0: D3D84015 180001F7
	v_pk_mul_f32 v[20:21], v[22:23], v[20:21]                  // 000000005DE8: D3B14014 18022916
	v_accvgpr_write_b32 a246, v20                              // 000000005DF0: D3D940F6 18000114
	v_accvgpr_write_b32 a247, v21                              // 000000005DF8: D3D940F7 18000115
	v_accvgpr_read_b32 v20, a248                               // 000000005E00: D3D84014 180001F8
	v_accvgpr_read_b32 v21, a249                               // 000000005E08: D3D84015 180001F9
	v_pk_mul_f32 v[20:21], v[22:23], v[20:21]                  // 000000005E10: D3B14014 18022916
	v_accvgpr_write_b32 a248, v20                              // 000000005E18: D3D940F8 18000114
	v_accvgpr_write_b32 a249, v21                              // 000000005E20: D3D940F9 18000115
	v_accvgpr_read_b32 v20, a250                               // 000000005E28: D3D84014 180001FA
	v_accvgpr_read_b32 v21, a251                               // 000000005E30: D3D84015 180001FB
	v_pk_mul_f32 v[20:21], v[22:23], v[20:21]                  // 000000005E38: D3B14014 18022916
	v_accvgpr_write_b32 a250, v20                              // 000000005E40: D3D940FA 18000114
	v_accvgpr_write_b32 a251, v21                              // 000000005E48: D3D940FB 18000115
	v_accvgpr_read_b32 v20, a252                               // 000000005E50: D3D84014 180001FC
	v_accvgpr_read_b32 v21, a253                               // 000000005E58: D3D84015 180001FD
	v_pk_mul_f32 v[20:21], v[22:23], v[20:21]                  // 000000005E60: D3B14014 18022916
	v_accvgpr_write_b32 a252, v20                              // 000000005E68: D3D940FC 18000114
	v_accvgpr_write_b32 a253, v21                              // 000000005E70: D3D940FD 18000115
	v_accvgpr_read_b32 v20, a254                               // 000000005E78: D3D84014 180001FE
	v_accvgpr_read_b32 v21, a255                               // 000000005E80: D3D84015 180001FF
	v_pk_mul_f32 v[20:21], v[22:23], v[20:21]                  // 000000005E88: D3B14014 18022916
	v_accvgpr_write_b32 a254, v20                              // 000000005E90: D3D940FE 18000114
	v_accvgpr_write_b32 a255, v21                              // 000000005E98: D3D940FF 18000115
	s_waitcnt vmcnt(18) lgkmcnt(0)                             // 000000005EA0: BF8C4072
	s_barrier                                                  // 000000005EA4: BF8A0000
	v_mfma_f32_16x16x16_bf16 v[148:151], a[144:145], v[36:37], v[148:151]// 000000005EA8: D3E10094 0E524990
	ds_read_b64 v[20:21], v5 offset:18560                      // 000000005EB0: D8EC4880 14000005
	ds_read_b64 v[22:23], v5 offset:23200                      // 000000005EB8: D8EC5AA0 16000005
	ds_read_b64 v[24:25], v5 offset:27840                      // 000000005EC0: D8EC6CC0 18000005
	ds_read_b64 v[26:27], v5 offset:32480                      // 000000005EC8: D8EC7EE0 1A000005
	v_mfma_f32_16x16x16_bf16 v[152:155], a[146:147], v[36:37], v[152:155]// 000000005ED0: D3E10098 0E624992
	v_mfma_f32_16x16x16_bf16 v[156:159], a[148:149], v[36:37], v[156:159]// 000000005ED8: D3E1009C 0E724994
	v_mfma_f32_16x16x16_bf16 v[160:163], a[150:151], v[36:37], v[160:163]// 000000005EE0: D3E100A0 0E824996
	v_mfma_f32_16x16x16_bf16 v[164:167], a[152:153], v[36:37], v[164:167]// 000000005EE8: D3E100A4 0E924998
	ds_read_b128 a[144:147], v4 offset:18560                   // 000000005EF0: DBFE4880 90000004
	ds_read_b128 a[148:151], v4 offset:18624                   // 000000005EF8: DBFE48C0 94000004
	v_mfma_f32_16x16x16_bf16 v[168:171], a[154:155], v[36:37], v[168:171]// 000000005F00: D3E100A8 0EA2499A
	v_mfma_f32_16x16x16_bf16 v[172:175], a[156:157], v[36:37], v[172:175]// 000000005F08: D3E100AC 0EB2499C
	s_waitcnt lgkmcnt(2)                                       // 000000005F10: BF8CC27F
	v_perm_b32 v28, v22, v20, s53                              // 000000005F14: D1ED001C 00D62916
	v_perm_b32 v30, v22, v20, s52                              // 000000005F1C: D1ED001E 00D22916
	v_perm_b32 v29, v26, v24, s53                              // 000000005F24: D1ED001D 00D6311A
	v_perm_b32 v31, v26, v24, s52                              // 000000005F2C: D1ED001F 00D2311A
	v_mfma_f32_16x16x16_bf16 v[176:179], a[158:159], v[36:37], v[176:179]// 000000005F34: D3E100B0 0EC2499E
	v_mfma_f32_16x16x16_bf16 v[180:183], a[160:161], v[36:37], v[180:183]// 000000005F3C: D3E100B4 0ED249A0
	ds_write_b128 v6, v[28:31] offset:37120                    // 000000005F44: D9BE9100 00001C06
	v_mfma_f32_16x16x16_bf16 v[184:187], a[162:163], v[36:37], v[184:187]// 000000005F4C: D3E100B8 0EE249A2
	v_mfma_f32_16x16x16_bf16 v[188:191], a[164:165], v[36:37], v[188:191]// 000000005F54: D3E100BC 0EF249A4
	v_perm_b32 v28, v23, v21, s53                              // 000000005F5C: D1ED001C 00D62B17
	v_perm_b32 v30, v23, v21, s52                              // 000000005F64: D1ED001E 00D22B17
	v_perm_b32 v29, v27, v25, s53                              // 000000005F6C: D1ED001D 00D6331B
	v_perm_b32 v31, v27, v25, s52                              // 000000005F74: D1ED001F 00D2331B
	v_mfma_f32_16x16x16_bf16 v[192:195], a[166:167], v[36:37], v[192:195]// 000000005F7C: D3E100C0 0F0249A6
	v_mfma_f32_16x16x16_bf16 v[196:199], a[168:169], v[36:37], v[196:199]// 000000005F84: D3E100C4 0F1249A8
	ds_write_b128 v6, v[28:31] offset:38144                    // 000000005F8C: D9BE9500 00001C06
	v_mfma_f32_16x16x16_bf16 v[200:203], a[170:171], v[36:37], v[200:203]// 000000005F94: D3E100C8 0F2249AA
	v_mfma_f32_16x16x16_bf16 v[204:207], a[172:173], v[36:37], v[204:207]// 000000005F9C: D3E100CC 0F3249AC
	v_mfma_f32_16x16x16_bf16 v[208:211], a[174:175], v[36:37], v[208:211]// 000000005FA4: D3E100D0 0F4249AE
	v_mfma_f32_16x16x16_bf16 v[212:215], a[176:177], v[36:37], v[212:215]// 000000005FAC: D3E100D4 0F5249B0
	ds_read_b64 v[20:21], v5 offset:19584                      // 000000005FB4: D8EC4C80 14000005
	ds_read_b64 v[22:23], v5 offset:24224                      // 000000005FBC: D8EC5EA0 16000005
	v_mfma_f32_16x16x16_bf16 v[216:219], a[178:179], v[36:37], v[216:219]// 000000005FC4: D3E100D8 0F6249B2
	v_mfma_f32_16x16x16_bf16 v[220:223], a[180:181], v[36:37], v[220:223]// 000000005FCC: D3E100DC 0F7249B4
	ds_read_b64 v[24:25], v5 offset:28864                      // 000000005FD4: D8EC70C0 18000005
	ds_read_b64 v[26:27], v5 offset:33504                      // 000000005FDC: D8EC82E0 1A000005
	v_mfma_f32_16x16x16_bf16 v[224:227], a[182:183], v[36:37], v[224:227]// 000000005FE4: D3E100E0 0F8249B6
	v_mfma_f32_16x16x16_bf16 v[228:231], a[184:185], v[36:37], v[228:231]// 000000005FEC: D3E100E4 0F9249B8
	ds_read_b128 a[152:155], v4 offset:18816                   // 000000005FF4: DBFE4980 98000004
	ds_read_b128 a[156:159], v4 offset:18880                   // 000000005FFC: DBFE49C0 9C000004
	v_mfma_f32_16x16x16_bf16 v[232:235], a[186:187], v[36:37], v[232:235]// 000000006004: D3E100E8 0FA249BA
	v_mfma_f32_16x16x16_bf16 v[236:239], a[188:189], v[36:37], v[236:239]// 00000000600C: D3E100EC 0FB249BC
	v_mfma_f32_16x16x16_bf16 v[240:243], a[190:191], v[36:37], v[240:243]// 000000006014: D3E100F0 0FC249BE
	v_mfma_f32_16x16x16_bf16 v[244:247], a[192:193], v[36:37], v[244:247]// 00000000601C: D3E100F4 0FD249C0
	ds_read_b128 a[160:163], v4 offset:19072                   // 000000006024: DBFE4A80 A0000004
	ds_read_b128 a[164:167], v4 offset:19136                   // 00000000602C: DBFE4AC0 A4000004
	v_mfma_f32_16x16x16_bf16 v[248:251], a[194:195], v[36:37], v[248:251]// 000000006034: D3E100F8 0FE249C2
	v_mfma_f32_16x16x16_bf16 v[252:255], a[196:197], v[36:37], v[252:255]// 00000000603C: D3E100FC 0FF249C4
	v_mfma_f32_16x16x16_bf16 a[236:239], a[198:199], v[36:37], a[236:239]// 000000006044: D3E180EC 0FB249C6
	v_mfma_f32_16x16x16_bf16 a[240:243], a[200:201], v[36:37], a[240:243]// 00000000604C: D3E180F0 0FC249C8
	ds_read_b128 a[168:171], v4 offset:19328                   // 000000006054: DBFE4B80 A8000004
	ds_read_b128 a[172:175], v4 offset:19392                   // 00000000605C: DBFE4BC0 AC000004
	v_mfma_f32_16x16x16_bf16 a[244:247], a[202:203], v[36:37], a[244:247]// 000000006064: D3E180F4 0FD249CA
	v_mfma_f32_16x16x16_bf16 a[248:251], a[204:205], v[36:37], a[248:251]// 00000000606C: D3E180F8 0FE249CC
	v_mfma_f32_16x16x16_bf16 a[252:255], a[206:207], v[36:37], a[252:255]// 000000006074: D3E180FC 0FF249CE
	s_nop 0                                                    // 00000000607C: BF800000
	s_addk_i32 s70, 0x1                                        // 000000006080: B7460001
	s_cmp_lt_i32 s70, s71                                      // 000000006084: BF044746
	s_cbranch_scc0 label_0F9A                                  // 000000006088: BF84FB77
	s_waitcnt lgkmcnt(4)                                       // 00000000608C: BF8CC47F
	v_mfma_f32_16x16x16_bf16 v[32:35], a[144:145], a[0:1], 0   // 000000006090: D3E10020 1A020190
	buffer_load_dword v11, v8, s[24:27], 0 offen               // 000000006098: E0501000 80060B08
	v_mfma_f32_16x16x16_bf16 v[32:35], a[146:147], a[2:3], v[32:35]// 0000000060A0: D3E10020 1C820592
	ds_read_b128 a[176:179], v4 offset:19584                   // 0000000060A8: DBFE4C80 B0000004
	ds_read_b128 a[180:183], v4 offset:19648                   // 0000000060B0: DBFE4CC0 B4000004
	v_mfma_f32_16x16x16_bf16 v[32:35], a[148:149], a[4:5], v[32:35]// 0000000060B8: D3E10020 1C820994
	v_mfma_f32_16x16x16_bf16 v[32:35], a[150:151], a[6:7], v[32:35]// 0000000060C0: D3E10020 1C820D96
	v_mfma_f32_16x16x16_bf16 v[32:35], a[152:153], a[8:9], v[32:35]// 0000000060C8: D3E10020 1C821198
	v_mfma_f32_16x16x16_bf16 v[32:35], a[154:155], a[10:11], v[32:35]// 0000000060D0: D3E10020 1C82159A
	ds_read_b128 a[184:187], v4 offset:19840                   // 0000000060D8: DBFE4D80 B8000004
	ds_read_b128 a[188:191], v4 offset:19904                   // 0000000060E0: DBFE4DC0 BC000004
	v_mfma_f32_16x16x16_bf16 v[32:35], a[156:157], a[12:13], v[32:35]// 0000000060E8: D3E10020 1C82199C
	v_mfma_f32_16x16x16_bf16 v[32:35], a[158:159], a[14:15], v[32:35]// 0000000060F0: D3E10020 1C821D9E
	s_waitcnt lgkmcnt(4)                                       // 0000000060F8: BF8CC47F
	v_mfma_f32_16x16x16_bf16 v[32:35], a[160:161], a[16:17], v[32:35]// 0000000060FC: D3E10020 1C8221A0
	v_mfma_f32_16x16x16_bf16 v[32:35], a[162:163], a[18:19], v[32:35]// 000000006104: D3E10020 1C8225A2
	ds_read_b128 a[192:195], v4 offset:20096                   // 00000000610C: DBFE4E80 C0000004
	ds_read_b128 a[196:199], v4 offset:20160                   // 000000006114: DBFE4EC0 C4000004
	v_mfma_f32_16x16x16_bf16 v[32:35], a[164:165], a[20:21], v[32:35]// 00000000611C: D3E10020 1C8229A4
	v_mfma_f32_16x16x16_bf16 v[32:35], a[166:167], a[22:23], v[32:35]// 000000006124: D3E10020 1C822DA6
	v_mfma_f32_16x16x16_bf16 v[32:35], a[168:169], a[24:25], v[32:35]// 00000000612C: D3E10020 1C8231A8
	v_mfma_f32_16x16x16_bf16 v[32:35], a[170:171], a[26:27], v[32:35]// 000000006134: D3E10020 1C8235AA
	ds_read_b128 a[200:203], v4 offset:20352                   // 00000000613C: DBFE4F80 C8000004
	ds_read_b128 a[204:207], v4 offset:20416                   // 000000006144: DBFE4FC0 CC000004
	v_mfma_f32_16x16x16_bf16 v[32:35], a[172:173], a[28:29], v[32:35]// 00000000614C: D3E10020 1C8239AC
	v_mfma_f32_16x16x16_bf16 v[32:35], a[174:175], a[30:31], v[32:35]// 000000006154: D3E10020 1C823DAE
	s_waitcnt lgkmcnt(4)                                       // 00000000615C: BF8CC47F
	s_barrier                                                  // 000000006160: BF8A0000
	v_mfma_f32_16x16x16_bf16 v[32:35], a[176:177], a[32:33], v[32:35]// 000000006164: D3E10020 1C8241B0
	v_mfma_f32_16x16x16_bf16 v[32:35], a[178:179], a[34:35], v[32:35]// 00000000616C: D3E10020 1C8245B2
	ds_read_b128 a[208:211], v4 offset:20608                   // 000000006174: DBFE5080 D0000004
	ds_read_b128 a[212:215], v4 offset:20672                   // 00000000617C: DBFE50C0 D4000004
	v_mfma_f32_16x16x16_bf16 v[32:35], a[180:181], a[36:37], v[32:35]// 000000006184: D3E10020 1C8249B4
	buffer_load_dword v18, s[20:23], 0 offen lds               // 00000000618C: E0511000 80050012
	s_add_u32 m0, 0, s37                                       // 000000006194: 807C2580
	v_mfma_f32_16x16x16_bf16 v[32:35], a[182:183], a[38:39], v[32:35]// 000000006198: D3E10020 1C824DB6
	v_perm_b32 v28, v22, v20, s53                              // 0000000061A0: D1ED001C 00D62916
	v_perm_b32 v30, v22, v20, s52                              // 0000000061A8: D1ED001E 00D22916
	v_perm_b32 v29, v26, v24, s53                              // 0000000061B0: D1ED001D 00D6311A
	v_perm_b32 v31, v26, v24, s52                              // 0000000061B8: D1ED001F 00D2311A
	v_mfma_f32_16x16x16_bf16 v[32:35], a[184:185], a[40:41], v[32:35]// 0000000061C0: D3E10020 1C8251B8
	buffer_load_dword v19, s[20:23], 0 offen lds               // 0000000061C8: E0511000 80050013
	s_add_u32 m0, 0x80, s36                                    // 0000000061D0: 807C24FF 00000080
	v_mfma_f32_16x16x16_bf16 v[32:35], a[186:187], a[42:43], v[32:35]// 0000000061D8: D3E10020 1C8255BA
	ds_write_b128 v6, v[28:31] offset:45312                    // 0000000061E0: D9BEB100 00001C06
	v_mfma_f32_16x16x16_bf16 v[32:35], a[188:189], a[44:45], v[32:35]// 0000000061E8: D3E10020 1C8259BC
	buffer_load_dword v18, s[20:23], 0 offen offset:128 lds    // 0000000061F0: E0511080 80050012
	s_add_u32 m0, 0x80, s37                                    // 0000000061F8: 807C25FF 00000080
	v_mfma_f32_16x16x16_bf16 v[32:35], a[190:191], a[46:47], v[32:35]// 000000006200: D3E10020 1C825DBE
	v_perm_b32 v28, v23, v21, s53                              // 000000006208: D1ED001C 00D62B17
	v_perm_b32 v30, v23, v21, s52                              // 000000006210: D1ED001E 00D22B17
	v_perm_b32 v29, v27, v25, s53                              // 000000006218: D1ED001D 00D6331B
	v_perm_b32 v31, v27, v25, s52                              // 000000006220: D1ED001F 00D2331B
	s_waitcnt lgkmcnt(1)                                       // 000000006228: BF8CC17F
	v_mfma_f32_16x16x16_bf16 v[32:35], a[192:193], a[48:49], v[32:35]// 00000000622C: D3E10020 1C8261C0
	buffer_load_dword v19, s[20:23], 0 offen offset:128 lds    // 000000006234: E0511080 80050013
	s_add_u32 m0, 0x100, s36                                   // 00000000623C: 807C24FF 00000100
	v_mfma_f32_16x16x16_bf16 v[32:35], a[194:195], a[50:51], v[32:35]// 000000006244: D3E10020 1C8265C2
	ds_write_b128 v6, v[28:31] offset:46336                    // 00000000624C: D9BEB500 00001C06
	v_mfma_f32_16x16x16_bf16 v[32:35], a[196:197], a[52:53], v[32:35]// 000000006254: D3E10020 1C8269C4
	buffer_load_dword v18, s[20:23], 0 offen offset:256 lds    // 00000000625C: E0511100 80050012
	s_add_u32 m0, 0x100, s37                                   // 000000006264: 807C25FF 00000100
	v_mfma_f32_16x16x16_bf16 v[32:35], a[198:199], a[54:55], v[32:35]// 00000000626C: D3E10020 1C826DC6
	v_mfma_f32_16x16x16_bf16 v[32:35], a[200:201], a[56:57], v[32:35]// 000000006274: D3E10020 1C8271C8
	buffer_load_dword v19, s[20:23], 0 offen offset:256 lds    // 00000000627C: E0511100 80050013
	s_add_u32 m0, 0x180, s36                                   // 000000006284: 807C24FF 00000180
	v_mfma_f32_16x16x16_bf16 v[32:35], a[202:203], a[58:59], v[32:35]// 00000000628C: D3E10020 1C8275CA
	v_mfma_f32_16x16x16_bf16 v[32:35], a[204:205], a[60:61], v[32:35]// 000000006294: D3E10020 1C8279CC
	buffer_load_dword v18, s[20:23], 0 offen offset:384 lds    // 00000000629C: E0511180 80050012
	s_add_u32 m0, 0x180, s37                                   // 0000000062A4: 807C25FF 00000180
	v_mfma_f32_16x16x16_bf16 v[32:35], a[206:207], a[62:63], v[32:35]// 0000000062AC: D3E10020 1C827DCE
	v_mfma_f32_16x16x16_bf16 v[32:35], a[208:209], a[64:65], v[32:35]// 0000000062B4: D3E10020 1C8281D0
	buffer_load_dword v19, s[20:23], 0 offen offset:384 lds    // 0000000062BC: E0511180 80050013
	s_add_u32 m0, 0x200, s36                                   // 0000000062C4: 807C24FF 00000200
	v_mfma_f32_16x16x16_bf16 v[32:35], a[210:211], a[66:67], v[32:35]// 0000000062CC: D3E10020 1C8285D2
	v_mfma_f32_16x16x16_bf16 v[32:35], a[212:213], a[68:69], v[32:35]// 0000000062D4: D3E10020 1C8289D4
	buffer_load_dword v18, s[20:23], 0 offen offset:512 lds    // 0000000062DC: E0511200 80050012
	s_add_u32 m0, 0x200, s37                                   // 0000000062E4: 807C25FF 00000200
	v_mfma_f32_16x16x16_bf16 v[32:35], a[214:215], a[70:71], v[32:35]// 0000000062EC: D3E10020 1C828DD6
	v_add_u32_e32 v8, s73, v8                                  // 0000000062F4: 68101049
	s_cmp_le_i32 s83, s82                                      // 0000000062F8: BF055253
	s_cbranch_scc1 label_14E2                                  // 0000000062FC: BF850022
	v_mov_b32_e32 v25, 0xff800000                              // 000000006300: 7E3202FF FF800000
	v_mov_b32_e32 v24, s82                                     // 000000006308: 7E300252
	s_sub_u32 s56, s83, 15                                     // 00000000630C: 80B88F53
	v_lshrrev_b32_e32 v20, 4, v0                               // 000000006310: 20280084
	v_mul_i32_i24_e32 v20, 4, v20                              // 000000006314: 0C282884
	v_add_u32_e32 v20, s56, v20                                // 000000006318: 68282838
	v_add_u32_e32 v21, 1, v20                                  // 00000000631C: 682A2881
	v_add_u32_e32 v22, 2, v20                                  // 000000006320: 682C2882
	v_add_u32_e32 v23, 3, v20                                  // 000000006324: 682E2883
	v_cmp_le_u32_e64 s[38:39], v20, v24                        // 000000006328: D0CB0026 00023114
	v_add_u32_e32 v20, 64, v20                                 // 000000006330: 682828C0
	s_nop 0                                                    // 000000006334: BF800000
	v_cndmask_b32_e64 v32, v25, v32, s[38:39]                  // 000000006338: D1000020 009A4119
	v_cmp_le_u32_e64 s[38:39], v21, v24                        // 000000006340: D0CB0026 00023115
	v_add_u32_e32 v21, 64, v21                                 // 000000006348: 682A2AC0
	s_nop 0                                                    // 00000000634C: BF800000
	v_cndmask_b32_e64 v33, v25, v33, s[38:39]                  // 000000006350: D1000021 009A4319
	v_cmp_le_u32_e64 s[38:39], v22, v24                        // 000000006358: D0CB0026 00023116
	v_add_u32_e32 v22, 64, v22                                 // 000000006360: 682C2CC0
	s_nop 0                                                    // 000000006364: BF800000
	v_cndmask_b32_e64 v34, v25, v34, s[38:39]                  // 000000006368: D1000022 009A4519
	v_cmp_le_u32_e64 s[38:39], v23, v24                        // 000000006370: D0CB0026 00023117
	v_add_u32_e32 v23, 64, v23                                 // 000000006378: 682E2EC0
	s_nop 0                                                    // 00000000637C: BF800000
	v_cndmask_b32_e64 v35, v25, v35, s[38:39]                  // 000000006380: D1000023 009A4719

0000000000006388 <label_14E2>:
	s_waitcnt lgkmcnt(0)                                       // 000000006388: BF8CC07F
	s_barrier                                                  // 00000000638C: BF8A0000
	v_mfma_f32_16x16x16_bf16 v[36:39], a[144:145], a[72:73], 0 // 000000006390: D3E10024 1A029190
	v_mfma_f32_16x16x16_bf16 v[36:39], a[146:147], a[74:75], v[36:39]// 000000006398: D3E10024 1C929592
	v_max3_f32 v24, v32, v33, v32                              // 0000000063A0: D1D30018 04824320
	v_max3_f32 v24, v34, v35, v24                              // 0000000063A8: D1D30018 04624722
	ds_write_b32 v3, v24 offset:53504                          // 0000000063B0: D81AD100 00001803
	v_mfma_f32_16x16x16_bf16 v[36:39], a[148:149], a[76:77], v[36:39]// 0000000063B8: D3E10024 1C929994
	buffer_load_dword v19, s[20:23], 0 offen offset:512 lds    // 0000000063C0: E0511200 80050013
	s_add_u32 m0, 0x280, s36                                   // 0000000063C8: 807C24FF 00000280
	v_mfma_f32_16x16x16_bf16 v[36:39], a[150:151], a[78:79], v[36:39]// 0000000063D0: D3E10024 1C929D96
	v_mfma_f32_16x16x16_bf16 v[36:39], a[152:153], a[80:81], v[36:39]// 0000000063D8: D3E10024 1C92A198
	buffer_load_dword v18, s[20:23], 0 offen offset:640 lds    // 0000000063E0: E0511280 80050012
	s_add_u32 m0, 0x280, s37                                   // 0000000063E8: 807C25FF 00000280
	v_mfma_f32_16x16x16_bf16 v[36:39], a[154:155], a[82:83], v[36:39]// 0000000063F0: D3E10024 1C92A59A
	v_mfma_f32_16x16x16_bf16 v[36:39], a[156:157], a[84:85], v[36:39]// 0000000063F8: D3E10024 1C92A99C
	s_waitcnt lgkmcnt(0)                                       // 000000006400: BF8CC07F
	ds_read_b32 v20, v2 offset:53504                           // 000000006404: D86CD100 14000002
	ds_read_b32 v21, v2 offset:53568                           // 00000000640C: D86CD140 15000002
	v_mfma_f32_16x16x16_bf16 v[36:39], a[158:159], a[86:87], v[36:39]// 000000006414: D3E10024 1C92AD9E
	ds_read_b32 v22, v2 offset:53632                           // 00000000641C: D86CD180 16000002
	ds_read_b32 v23, v2 offset:53696                           // 000000006424: D86CD1C0 17000002
	v_mfma_f32_16x16x16_bf16 v[36:39], a[160:161], a[88:89], v[36:39]// 00000000642C: D3E10024 1C92B1A0
	buffer_load_dword v19, s[20:23], 0 offen offset:640 lds    // 000000006434: E0511280 80050013
	s_add_u32 m0, 0x300, s36                                   // 00000000643C: 807C24FF 00000300
	v_mfma_f32_16x16x16_bf16 v[36:39], a[162:163], a[90:91], v[36:39]// 000000006444: D3E10024 1C92B5A2
	v_mfma_f32_16x16x16_bf16 v[36:39], a[164:165], a[92:93], v[36:39]// 00000000644C: D3E10024 1C92B9A4
	buffer_load_dword v18, s[20:23], 0 offen offset:768 lds    // 000000006454: E0511300 80050012
	s_add_u32 m0, 0x300, s37                                   // 00000000645C: 807C25FF 00000300
	v_mfma_f32_16x16x16_bf16 v[36:39], a[166:167], a[94:95], v[36:39]// 000000006464: D3E10024 1C92BDA6
	v_mfma_f32_16x16x16_bf16 v[36:39], a[168:169], a[96:97], v[36:39]// 00000000646C: D3E10024 1C92C1A8
	buffer_load_dword v19, s[20:23], 0 offen offset:768 lds    // 000000006474: E0511300 80050013
	s_add_u32 m0, 0x380, s36                                   // 00000000647C: 807C24FF 00000380
	v_mfma_f32_16x16x16_bf16 v[36:39], a[170:171], a[98:99], v[36:39]// 000000006484: D3E10024 1C92C5AA
	v_mfma_f32_16x16x16_bf16 v[36:39], a[172:173], a[100:101], v[36:39]// 00000000648C: D3E10024 1C92C9AC
	s_waitcnt lgkmcnt(0)                                       // 000000006494: BF8CC07F
	v_max3_f32 v24, v20, v21, v24                              // 000000006498: D1D30018 04622B14
	v_max3_f32 v24, v22, v23, v24                              // 0000000064A0: D1D30018 04622F16
	v_mfma_f32_16x16x16_bf16 v[36:39], a[174:175], a[102:103], v[36:39]// 0000000064A8: D3E10024 1C92CDAE
	v_mfma_f32_16x16x16_bf16 v[36:39], a[176:177], a[104:105], v[36:39]// 0000000064B0: D3E10024 1C92D1B0
	buffer_load_dword v18, s[20:23], 0 offen offset:896 lds    // 0000000064B8: E0511380 80050012
	s_add_u32 m0, 0x380, s37                                   // 0000000064C0: 807C25FF 00000380
	v_mfma_f32_16x16x16_bf16 v[36:39], a[178:179], a[106:107], v[36:39]// 0000000064C8: D3E10024 1C92D5B2
	v_mfma_f32_16x16x16_bf16 v[36:39], a[180:181], a[108:109], v[36:39]// 0000000064D0: D3E10024 1C92D9B4
	buffer_load_dword v19, s[20:23], 0 offen offset:896 lds    // 0000000064D8: E0511380 80050013
	s_add_u32 m0, 0x400, s36                                   // 0000000064E0: 807C24FF 00000400
	v_mfma_f32_16x16x16_bf16 v[36:39], a[182:183], a[110:111], v[36:39]// 0000000064E8: D3E10024 1C92DDB6
	v_mfma_f32_16x16x16_bf16 v[36:39], a[184:185], a[112:113], v[36:39]// 0000000064F0: D3E10024 1C92E1B8
	buffer_load_dword v18, s[20:23], 0 offen offset:1024 lds   // 0000000064F8: E0511400 80050012
	s_add_u32 m0, 0x400, s37                                   // 000000006500: 807C25FF 00000400
	v_mfma_f32_16x16x16_bf16 v[36:39], a[186:187], a[114:115], v[36:39]// 000000006508: D3E10024 1C92E5BA
	ds_read_b128 a[144:147], v7 offset:37120                   // 000000006510: DBFE9100 90000007
	ds_read_b128 a[148:151], v7 offset:38144                   // 000000006518: DBFE9500 94000007
	v_mfma_f32_16x16x16_bf16 v[36:39], a[188:189], a[116:117], v[36:39]// 000000006520: D3E10024 1C92E9BC
	v_mfma_f32_16x16x16_bf16 v[36:39], a[190:191], a[118:119], v[36:39]// 000000006528: D3E10024 1C92EDBE
	v_mfma_f32_16x16x16_bf16 v[36:39], a[192:193], a[120:121], v[36:39]// 000000006530: D3E10024 1C92F1C0
	buffer_load_dword v19, s[20:23], 0 offen offset:1024 lds   // 000000006538: E0511400 80050013
	s_add_u32 m0, 0x480, s36                                   // 000000006540: 807C24FF 00000480
	v_mfma_f32_16x16x16_bf16 v[36:39], a[194:195], a[122:123], v[36:39]// 000000006548: D3E10024 1C92F5C2
	ds_read_b128 a[152:155], v7 offset:39168                   // 000000006550: DBFE9900 98000007
	ds_read_b128 a[156:159], v7 offset:40192                   // 000000006558: DBFE9D00 9C000007
	v_mfma_f32_16x16x16_bf16 v[36:39], a[196:197], a[124:125], v[36:39]// 000000006560: D3E10024 1C92F9C4
	v_mfma_f32_16x16x16_bf16 v[36:39], a[198:199], a[126:127], v[36:39]// 000000006568: D3E10024 1C92FDC6
	v_mfma_f32_16x16x16_bf16 v[36:39], a[200:201], a[128:129], v[36:39]// 000000006570: D3E10024 1C9301C8
	v_mfma_f32_16x16x16_bf16 v[36:39], a[202:203], a[130:131], v[36:39]// 000000006578: D3E10024 1C9305CA
	ds_read_b128 a[160:163], v7 offset:41216                   // 000000006580: DBFEA100 A0000007
	ds_read_b128 a[164:167], v7 offset:42240                   // 000000006588: DBFEA500 A4000007
	v_mfma_f32_16x16x16_bf16 v[36:39], a[204:205], a[132:133], v[36:39]// 000000006590: D3E10024 1C9309CC
	v_mfma_f32_16x16x16_bf16 v[36:39], a[206:207], a[134:135], v[36:39]// 000000006598: D3E10024 1C930DCE
	v_mfma_f32_16x16x16_bf16 v[36:39], a[208:209], a[136:137], v[36:39]// 0000000065A0: D3E10024 1C9311D0
	v_mfma_f32_16x16x16_bf16 v[36:39], a[210:211], a[138:139], v[36:39]// 0000000065A8: D3E10024 1C9315D2
	ds_read_b128 a[168:171], v7 offset:43264                   // 0000000065B0: DBFEA900 A8000007
	ds_read_b128 a[172:175], v7 offset:44288                   // 0000000065B8: DBFEAD00 AC000007
	v_mfma_f32_16x16x16_bf16 v[36:39], a[212:213], a[140:141], v[36:39]// 0000000065C0: D3E10024 1C9319D4
	v_mfma_f32_16x16x16_bf16 v[36:39], a[214:215], a[142:143], v[36:39]// 0000000065C8: D3E10024 1C931DD6
	v_mov_b32_e32 v25, 0xff7fffff                              // 0000000065D0: 7E3202FF FF7FFFFF
	v_cmp_eq_u32_e64 s[38:39], v25, v12                        // 0000000065D8: D0CA0026 00021919
	v_max_f32_e32 v20, v24, v12                                // 0000000065E0: 16281918
	v_sub_f32_e32 v16, v12, v20                                // 0000000065E4: 0420290C
	v_cndmask_b32_e64 v16, v16, 0, s[38:39]                    // 0000000065E8: D1000010 00990110
	v_mov_b32_e32 v12, v20                                     // 0000000065F0: 7E180314
	v_mul_f32_e32 v21, s5, v20                                 // 0000000065F4: 0A2A2805
	v_mul_f32_e32 v16, s5, v16                                 // 0000000065F8: 0A202005
	v_exp_f32_e32 v16, v16                                     // 0000000065FC: 7E204110
	v_fma_f32 v32, v32, s5, -v21                               // 000000006600: D1CB0020 84540B20
	v_fma_f32 v33, v33, s5, -v21                               // 000000006608: D1CB0021 84540B21
	v_fma_f32 v34, v34, s5, -v21                               // 000000006610: D1CB0022 84540B22
	v_fma_f32 v35, v35, s5, -v21                               // 000000006618: D1CB0023 84540B23
	v_exp_f32_e32 v32, v32                                     // 000000006620: 7E404120
	v_exp_f32_e32 v33, v33                                     // 000000006624: 7E424121
	v_exp_f32_e32 v34, v34                                     // 000000006628: 7E444122
	v_exp_f32_e32 v35, v35                                     // 00000000662C: 7E464123
	v_mul_f32_e32 v14, v16, v14                                // 000000006630: 0A1C1D10
	v_mov_b32_e32 v22, v32                                     // 000000006634: 7E2C0320
	v_add_f32_e32 v22, v33, v22                                // 000000006638: 022C2D21
	v_add_f32_e32 v22, v34, v22                                // 00000000663C: 022C2D22
	v_add_f32_e32 v22, v35, v22                                // 000000006640: 022C2D23
	v_add_f32_e32 v14, v22, v14                                // 000000006644: 021C1D16
	v_mov_b32_e32 v29, 0xffff0000                              // 000000006648: 7E3A02FF FFFF0000
	v_mov_b32_e32 v30, 0x7fff0000                              // 000000006650: 7E3C02FF 7FFF0000
	v_mov_b32_e32 v31, 0x7fff                                  // 000000006658: 7E3E02FF 00007FFF
	v_cmp_u_f32_e64 s[38:39], v32, v32                         // 000000006660: D0480026 00024120
	v_add3_u32 v28, v32, v31, 1                                // 000000006668: D1FF001C 02063F20
	v_cndmask_b32_e64 v20, v28, v30, s[38:39]                  // 000000006670: D1000014 009A3D1C
	v_cmp_u_f32_e64 s[38:39], v33, v33                         // 000000006678: D0480026 00024321
	v_add3_u32 v28, v33, v31, 1                                // 000000006680: D1FF001C 02063F21
	v_cndmask_b32_e64 v21, v28, v30, s[38:39]                  // 000000006688: D1000015 009A3D1C
	v_perm_b32 v32, v21, v20, s52                              // 000000006690: D1ED0020 00D22915
	v_cmp_u_f32_e64 s[38:39], v34, v34                         // 000000006698: D0480026 00024522
	v_add3_u32 v28, v34, v31, 1                                // 0000000066A0: D1FF001C 02063F22
	v_cndmask_b32_e64 v20, v28, v30, s[38:39]                  // 0000000066A8: D1000014 009A3D1C
	v_cmp_u_f32_e64 s[38:39], v35, v35                         // 0000000066B0: D0480026 00024723
	v_add3_u32 v28, v35, v31, 1                                // 0000000066B8: D1FF001C 02063F23
	v_cndmask_b32_e64 v21, v28, v30, s[38:39]                  // 0000000066C0: D1000015 009A3D1C
	v_perm_b32 v33, v21, v20, s52                              // 0000000066C8: D1ED0021 00D22915
	s_nop 2                                                    // 0000000066D0: BF800002
	s_cmp_le_i32 s83, s82                                      // 0000000066D4: BF055253
	s_cbranch_scc1 label_15D9                                  // 0000000066D8: BF850022
	v_mov_b32_e32 v25, 0xff800000                              // 0000000066DC: 7E3202FF FF800000
	v_mov_b32_e32 v24, s82                                     // 0000000066E4: 7E300252
	s_sub_u32 s56, s83, 15                                     // 0000000066E8: 80B88F53
	v_lshrrev_b32_e32 v20, 4, v0                               // 0000000066EC: 20280084
	v_mul_i32_i24_e32 v20, 4, v20                              // 0000000066F0: 0C282884
	v_add_u32_e32 v20, s56, v20                                // 0000000066F4: 68282838
	v_add_u32_e32 v21, 1, v20                                  // 0000000066F8: 682A2881
	v_add_u32_e32 v22, 2, v20                                  // 0000000066FC: 682C2882
	v_add_u32_e32 v23, 3, v20                                  // 000000006700: 682E2883
	v_cmp_le_u32_e64 s[38:39], v20, v24                        // 000000006704: D0CB0026 00023114
	v_add_u32_e32 v20, 64, v20                                 // 00000000670C: 682828C0
	s_nop 0                                                    // 000000006710: BF800000
	v_cndmask_b32_e64 v36, v25, v36, s[38:39]                  // 000000006714: D1000024 009A4919
	v_cmp_le_u32_e64 s[38:39], v21, v24                        // 00000000671C: D0CB0026 00023115
	v_add_u32_e32 v21, 64, v21                                 // 000000006724: 682A2AC0
	s_nop 0                                                    // 000000006728: BF800000
	v_cndmask_b32_e64 v37, v25, v37, s[38:39]                  // 00000000672C: D1000025 009A4B19
	v_cmp_le_u32_e64 s[38:39], v22, v24                        // 000000006734: D0CB0026 00023116
	v_add_u32_e32 v22, 64, v22                                 // 00000000673C: 682C2CC0
	s_nop 0                                                    // 000000006740: BF800000
	v_cndmask_b32_e64 v38, v25, v38, s[38:39]                  // 000000006744: D1000026 009A4D19
	v_cmp_le_u32_e64 s[38:39], v23, v24                        // 00000000674C: D0CB0026 00023117
	v_add_u32_e32 v23, 64, v23                                 // 000000006754: 682E2EC0
	s_nop 0                                                    // 000000006758: BF800000
	v_cndmask_b32_e64 v39, v25, v39, s[38:39]                  // 00000000675C: D1000027 009A4F19

0000000000006764 <label_15D9>:
	s_add_u32 s83, s84, s83                                    // 000000006764: 80535354
	s_nop 0                                                    // 000000006768: BF800000
	v_mul_u32_u24_dpp v18, v10, v9 row_newbcast:0 row_mask:0xf bank_mask:0xf// 00000000676C: 102412FA FF01500A
	v_mul_u32_u24_dpp v19, v10, v9 row_newbcast:8 row_mask:0xf bank_mask:0xf// 000000006774: 102612FA FF01580A
	v_add_u32_e32 v18, v18, v1                                 // 00000000677C: 68240312
	v_add_u32_e32 v19, v19, v1                                 // 000000006780: 68260313
	s_mov_b32 m0, s34                                          // 000000006784: BEFC0022
	v_mov_b32_e32 v22, v16                                     // 000000006788: 7E2C0310
	v_mov_b32_e32 v23, v16                                     // 00000000678C: 7E2E0310
	v_pk_mul_f32 v[40:41], v[22:23], v[40:41]                  // 000000006790: D3B14028 18025116
	v_pk_mul_f32 v[42:43], v[22:23], v[42:43]                  // 000000006798: D3B1402A 18025516
	v_pk_mul_f32 v[44:45], v[22:23], v[44:45]                  // 0000000067A0: D3B1402C 18025916
	v_pk_mul_f32 v[46:47], v[22:23], v[46:47]                  // 0000000067A8: D3B1402E 18025D16
	v_pk_mul_f32 v[48:49], v[22:23], v[48:49]                  // 0000000067B0: D3B14030 18026116
	v_pk_mul_f32 v[50:51], v[22:23], v[50:51]                  // 0000000067B8: D3B14032 18026516
	v_pk_mul_f32 v[52:53], v[22:23], v[52:53]                  // 0000000067C0: D3B14034 18026916
	v_pk_mul_f32 v[54:55], v[22:23], v[54:55]                  // 0000000067C8: D3B14036 18026D16
	v_pk_mul_f32 v[56:57], v[22:23], v[56:57]                  // 0000000067D0: D3B14038 18027116
	v_pk_mul_f32 v[58:59], v[22:23], v[58:59]                  // 0000000067D8: D3B1403A 18027516
	v_pk_mul_f32 v[60:61], v[22:23], v[60:61]                  // 0000000067E0: D3B1403C 18027916
	v_pk_mul_f32 v[62:63], v[22:23], v[62:63]                  // 0000000067E8: D3B1403E 18027D16
	v_pk_mul_f32 v[64:65], v[22:23], v[64:65]                  // 0000000067F0: D3B14040 18028116
	v_pk_mul_f32 v[66:67], v[22:23], v[66:67]                  // 0000000067F8: D3B14042 18028516
	v_pk_mul_f32 v[68:69], v[22:23], v[68:69]                  // 000000006800: D3B14044 18028916
	v_pk_mul_f32 v[70:71], v[22:23], v[70:71]                  // 000000006808: D3B14046 18028D16
	v_pk_mul_f32 v[72:73], v[22:23], v[72:73]                  // 000000006810: D3B14048 18029116
	v_pk_mul_f32 v[74:75], v[22:23], v[74:75]                  // 000000006818: D3B1404A 18029516
	v_pk_mul_f32 v[76:77], v[22:23], v[76:77]                  // 000000006820: D3B1404C 18029916
	v_pk_mul_f32 v[78:79], v[22:23], v[78:79]                  // 000000006828: D3B1404E 18029D16
	v_pk_mul_f32 v[80:81], v[22:23], v[80:81]                  // 000000006830: D3B14050 1802A116
	v_pk_mul_f32 v[82:83], v[22:23], v[82:83]                  // 000000006838: D3B14052 1802A516
	v_pk_mul_f32 v[84:85], v[22:23], v[84:85]                  // 000000006840: D3B14054 1802A916
	v_pk_mul_f32 v[86:87], v[22:23], v[86:87]                  // 000000006848: D3B14056 1802AD16
	v_pk_mul_f32 v[88:89], v[22:23], v[88:89]                  // 000000006850: D3B14058 1802B116
	v_pk_mul_f32 v[90:91], v[22:23], v[90:91]                  // 000000006858: D3B1405A 1802B516
	v_pk_mul_f32 v[92:93], v[22:23], v[92:93]                  // 000000006860: D3B1405C 1802B916
	v_pk_mul_f32 v[94:95], v[22:23], v[94:95]                  // 000000006868: D3B1405E 1802BD16
	v_pk_mul_f32 v[96:97], v[22:23], v[96:97]                  // 000000006870: D3B14060 1802C116
	v_pk_mul_f32 v[98:99], v[22:23], v[98:99]                  // 000000006878: D3B14062 1802C516
	v_pk_mul_f32 v[100:101], v[22:23], v[100:101]              // 000000006880: D3B14064 1802C916
	v_pk_mul_f32 v[102:103], v[22:23], v[102:103]              // 000000006888: D3B14066 1802CD16
	v_pk_mul_f32 v[104:105], v[22:23], v[104:105]              // 000000006890: D3B14068 1802D116
	v_pk_mul_f32 v[106:107], v[22:23], v[106:107]              // 000000006898: D3B1406A 1802D516
	v_pk_mul_f32 v[108:109], v[22:23], v[108:109]              // 0000000068A0: D3B1406C 1802D916
	v_pk_mul_f32 v[110:111], v[22:23], v[110:111]              // 0000000068A8: D3B1406E 1802DD16
	v_pk_mul_f32 v[112:113], v[22:23], v[112:113]              // 0000000068B0: D3B14070 1802E116
	v_pk_mul_f32 v[114:115], v[22:23], v[114:115]              // 0000000068B8: D3B14072 1802E516
	v_pk_mul_f32 v[116:117], v[22:23], v[116:117]              // 0000000068C0: D3B14074 1802E916
	v_pk_mul_f32 v[118:119], v[22:23], v[118:119]              // 0000000068C8: D3B14076 1802ED16
	v_pk_mul_f32 v[120:121], v[22:23], v[120:121]              // 0000000068D0: D3B14078 1802F116
	v_pk_mul_f32 v[122:123], v[22:23], v[122:123]              // 0000000068D8: D3B1407A 1802F516
	v_pk_mul_f32 v[124:125], v[22:23], v[124:125]              // 0000000068E0: D3B1407C 1802F916
	v_pk_mul_f32 v[126:127], v[22:23], v[126:127]              // 0000000068E8: D3B1407E 1802FD16
	v_pk_mul_f32 v[128:129], v[22:23], v[128:129]              // 0000000068F0: D3B14080 18030116
	v_pk_mul_f32 v[130:131], v[22:23], v[130:131]              // 0000000068F8: D3B14082 18030516
	v_pk_mul_f32 v[132:133], v[22:23], v[132:133]              // 000000006900: D3B14084 18030916
	v_pk_mul_f32 v[134:135], v[22:23], v[134:135]              // 000000006908: D3B14086 18030D16
	v_pk_mul_f32 v[136:137], v[22:23], v[136:137]              // 000000006910: D3B14088 18031116
	v_pk_mul_f32 v[138:139], v[22:23], v[138:139]              // 000000006918: D3B1408A 18031516
	v_pk_mul_f32 v[140:141], v[22:23], v[140:141]              // 000000006920: D3B1408C 18031916
	v_pk_mul_f32 v[142:143], v[22:23], v[142:143]              // 000000006928: D3B1408E 18031D16
	v_pk_mul_f32 v[144:145], v[22:23], v[144:145]              // 000000006930: D3B14090 18032116
	v_pk_mul_f32 v[146:147], v[22:23], v[146:147]              // 000000006938: D3B14092 18032516
	v_accvgpr_read_b32 v20, a216                               // 000000006940: D3D84014 180001D8
	v_accvgpr_read_b32 v21, a217                               // 000000006948: D3D84015 180001D9
	v_pk_mul_f32 v[20:21], v[22:23], v[20:21]                  // 000000006950: D3B14014 18022916
	v_accvgpr_write_b32 a216, v20                              // 000000006958: D3D940D8 18000114
	v_accvgpr_write_b32 a217, v21                              // 000000006960: D3D940D9 18000115
	v_accvgpr_read_b32 v20, a218                               // 000000006968: D3D84014 180001DA
	v_accvgpr_read_b32 v21, a219                               // 000000006970: D3D84015 180001DB
	v_pk_mul_f32 v[20:21], v[22:23], v[20:21]                  // 000000006978: D3B14014 18022916
	v_accvgpr_write_b32 a218, v20                              // 000000006980: D3D940DA 18000114
	v_accvgpr_write_b32 a219, v21                              // 000000006988: D3D940DB 18000115
	v_accvgpr_read_b32 v20, a220                               // 000000006990: D3D84014 180001DC
	v_accvgpr_read_b32 v21, a221                               // 000000006998: D3D84015 180001DD
	v_pk_mul_f32 v[20:21], v[22:23], v[20:21]                  // 0000000069A0: D3B14014 18022916
	v_accvgpr_write_b32 a220, v20                              // 0000000069A8: D3D940DC 18000114
	v_accvgpr_write_b32 a221, v21                              // 0000000069B0: D3D940DD 18000115
	v_accvgpr_read_b32 v20, a222                               // 0000000069B8: D3D84014 180001DE
	v_accvgpr_read_b32 v21, a223                               // 0000000069C0: D3D84015 180001DF
	v_pk_mul_f32 v[20:21], v[22:23], v[20:21]                  // 0000000069C8: D3B14014 18022916
	v_accvgpr_write_b32 a222, v20                              // 0000000069D0: D3D940DE 18000114
	v_accvgpr_write_b32 a223, v21                              // 0000000069D8: D3D940DF 18000115
	v_accvgpr_read_b32 v20, a224                               // 0000000069E0: D3D84014 180001E0
	v_accvgpr_read_b32 v21, a225                               // 0000000069E8: D3D84015 180001E1
	v_pk_mul_f32 v[20:21], v[22:23], v[20:21]                  // 0000000069F0: D3B14014 18022916
	v_accvgpr_write_b32 a224, v20                              // 0000000069F8: D3D940E0 18000114
	v_accvgpr_write_b32 a225, v21                              // 000000006A00: D3D940E1 18000115
	v_accvgpr_read_b32 v20, a226                               // 000000006A08: D3D84014 180001E2
	v_accvgpr_read_b32 v21, a227                               // 000000006A10: D3D84015 180001E3
	v_pk_mul_f32 v[20:21], v[22:23], v[20:21]                  // 000000006A18: D3B14014 18022916
	v_accvgpr_write_b32 a226, v20                              // 000000006A20: D3D940E2 18000114
	v_accvgpr_write_b32 a227, v21                              // 000000006A28: D3D940E3 18000115
	v_accvgpr_read_b32 v20, a228                               // 000000006A30: D3D84014 180001E4
	v_accvgpr_read_b32 v21, a229                               // 000000006A38: D3D84015 180001E5
	v_pk_mul_f32 v[20:21], v[22:23], v[20:21]                  // 000000006A40: D3B14014 18022916
	v_accvgpr_write_b32 a228, v20                              // 000000006A48: D3D940E4 18000114
	v_accvgpr_write_b32 a229, v21                              // 000000006A50: D3D940E5 18000115
	v_accvgpr_read_b32 v20, a230                               // 000000006A58: D3D84014 180001E6
	v_accvgpr_read_b32 v21, a231                               // 000000006A60: D3D84015 180001E7
	v_pk_mul_f32 v[20:21], v[22:23], v[20:21]                  // 000000006A68: D3B14014 18022916
	v_accvgpr_write_b32 a230, v20                              // 000000006A70: D3D940E6 18000114
	v_accvgpr_write_b32 a231, v21                              // 000000006A78: D3D940E7 18000115
	v_accvgpr_read_b32 v20, a232                               // 000000006A80: D3D84014 180001E8
	v_accvgpr_read_b32 v21, a233                               // 000000006A88: D3D84015 180001E9
	v_pk_mul_f32 v[20:21], v[22:23], v[20:21]                  // 000000006A90: D3B14014 18022916
	v_accvgpr_write_b32 a232, v20                              // 000000006A98: D3D940E8 18000114
	v_accvgpr_write_b32 a233, v21                              // 000000006AA0: D3D940E9 18000115
	v_accvgpr_read_b32 v20, a234                               // 000000006AA8: D3D84014 180001EA
	v_accvgpr_read_b32 v21, a235                               // 000000006AB0: D3D84015 180001EB
	v_pk_mul_f32 v[20:21], v[22:23], v[20:21]                  // 000000006AB8: D3B14014 18022916
	v_accvgpr_write_b32 a234, v20                              // 000000006AC0: D3D940EA 18000114
	v_accvgpr_write_b32 a235, v21                              // 000000006AC8: D3D940EB 18000115
	s_waitcnt lgkmcnt(0)                                       // 000000006AD0: BF8CC07F
	v_mfma_f32_16x16x16_bf16 v[40:43], a[144:145], v[32:33], v[40:43]// 000000006AD4: D3E10028 0CA24190
	v_mfma_f32_16x16x16_bf16 v[44:47], a[146:147], v[32:33], v[44:47]// 000000006ADC: D3E1002C 0CB24192
	ds_read_b128 a[176:179], v7 offset:45312                   // 000000006AE4: DBFEB100 B0000007
	ds_read_b128 a[180:183], v7 offset:46336                   // 000000006AEC: DBFEB500 B4000007
	v_mfma_f32_16x16x16_bf16 v[48:51], a[148:149], v[32:33], v[48:51]// 000000006AF4: D3E10030 0CC24194
	v_mfma_f32_16x16x16_bf16 v[52:55], a[150:151], v[32:33], v[52:55]// 000000006AFC: D3E10034 0CD24196
	v_mfma_f32_16x16x16_bf16 v[56:59], a[152:153], v[32:33], v[56:59]// 000000006B04: D3E10038 0CE24198
	v_mfma_f32_16x16x16_bf16 v[60:63], a[154:155], v[32:33], v[60:63]// 000000006B0C: D3E1003C 0CF2419A
	ds_read_b128 a[184:187], v7 offset:47360                   // 000000006B14: DBFEB900 B8000007
	ds_read_b128 a[188:191], v7 offset:48384                   // 000000006B1C: DBFEBD00 BC000007
	v_mfma_f32_16x16x16_bf16 v[64:67], a[156:157], v[32:33], v[64:67]// 000000006B24: D3E10040 0D02419C
	v_mfma_f32_16x16x16_bf16 v[68:71], a[158:159], v[32:33], v[68:71]// 000000006B2C: D3E10044 0D12419E
	v_mfma_f32_16x16x16_bf16 v[72:75], a[160:161], v[32:33], v[72:75]// 000000006B34: D3E10048 0D2241A0
	v_mfma_f32_16x16x16_bf16 v[76:79], a[162:163], v[32:33], v[76:79]// 000000006B3C: D3E1004C 0D3241A2
	ds_read_b128 a[192:195], v7 offset:49408                   // 000000006B44: DBFEC100 C0000007
	ds_read_b128 a[196:199], v7 offset:50432                   // 000000006B4C: DBFEC500 C4000007
	v_mfma_f32_16x16x16_bf16 v[80:83], a[164:165], v[32:33], v[80:83]// 000000006B54: D3E10050 0D4241A4
	v_mfma_f32_16x16x16_bf16 v[84:87], a[166:167], v[32:33], v[84:87]// 000000006B5C: D3E10054 0D5241A6
	v_mfma_f32_16x16x16_bf16 v[88:91], a[168:169], v[32:33], v[88:91]// 000000006B64: D3E10058 0D6241A8
	v_mfma_f32_16x16x16_bf16 v[92:95], a[170:171], v[32:33], v[92:95]// 000000006B6C: D3E1005C 0D7241AA
	ds_read_b128 a[200:203], v7 offset:51456                   // 000000006B74: DBFEC900 C8000007
	ds_read_b128 a[204:207], v7 offset:52480                   // 000000006B7C: DBFECD00 CC000007
	v_mfma_f32_16x16x16_bf16 v[96:99], a[172:173], v[32:33], v[96:99]// 000000006B84: D3E10060 0D8241AC
	v_mfma_f32_16x16x16_bf16 v[100:103], a[174:175], v[32:33], v[100:103]// 000000006B8C: D3E10064 0D9241AE
	s_waitcnt lgkmcnt(4)                                       // 000000006B94: BF8CC47F
	v_mfma_f32_16x16x16_bf16 v[104:107], a[176:177], v[32:33], v[104:107]// 000000006B98: D3E10068 0DA241B0
	v_max3_f32 v24, v36, v37, v36                              // 000000006BA0: D1D30018 04924B24
	v_max3_f32 v24, v38, v39, v24                              // 000000006BA8: D1D30018 04624F26
	ds_write_b32 v3, v24 offset:54528                          // 000000006BB0: D81AD500 00001803
	v_mfma_f32_16x16x16_bf16 v[108:111], a[178:179], v[32:33], v[108:111]// 000000006BB8: D3E1006C 0DB241B2
	v_mfma_f32_16x16x16_bf16 v[112:115], a[180:181], v[32:33], v[112:115]// 000000006BC0: D3E10070 0DC241B4
	v_mfma_f32_16x16x16_bf16 v[116:119], a[182:183], v[32:33], v[116:119]// 000000006BC8: D3E10074 0DD241B6
	v_mfma_f32_16x16x16_bf16 v[120:123], a[184:185], v[32:33], v[120:123]// 000000006BD0: D3E10078 0DE241B8
	v_mfma_f32_16x16x16_bf16 v[124:127], a[186:187], v[32:33], v[124:127]// 000000006BD8: D3E1007C 0DF241BA
	v_mfma_f32_16x16x16_bf16 v[128:131], a[188:189], v[32:33], v[128:131]// 000000006BE0: D3E10080 0E0241BC
	v_mfma_f32_16x16x16_bf16 v[132:135], a[190:191], v[32:33], v[132:135]// 000000006BE8: D3E10084 0E1241BE
	s_waitcnt lgkmcnt(0)                                       // 000000006BF0: BF8CC07F
	v_mfma_f32_16x16x16_bf16 v[136:139], a[192:193], v[32:33], v[136:139]// 000000006BF4: D3E10088 0E2241C0
	s_waitcnt lgkmcnt(0)                                       // 000000006BFC: BF8CC07F
	ds_read_b32 v20, v2 offset:54528                           // 000000006C00: D86CD500 14000002
	ds_read_b32 v21, v2 offset:54592                           // 000000006C08: D86CD540 15000002
	v_mfma_f32_16x16x16_bf16 v[140:143], a[194:195], v[32:33], v[140:143]// 000000006C10: D3E1008C 0E3241C2
	ds_read_b32 v22, v2 offset:54656                           // 000000006C18: D86CD580 16000002
	ds_read_b32 v23, v2 offset:54720                           // 000000006C20: D86CD5C0 17000002
	v_mfma_f32_16x16x16_bf16 v[144:147], a[196:197], v[32:33], v[144:147]// 000000006C28: D3E10090 0E4241C4
	v_mfma_f32_16x16x16_bf16 a[216:219], a[198:199], v[32:33], a[216:219]// 000000006C30: D3E180D8 0F6241C6
	v_mfma_f32_16x16x16_bf16 a[220:223], a[200:201], v[32:33], a[220:223]// 000000006C38: D3E180DC 0F7241C8
	v_mfma_f32_16x16x16_bf16 a[224:227], a[202:203], v[32:33], a[224:227]// 000000006C40: D3E180E0 0F8241CA
	v_mfma_f32_16x16x16_bf16 a[228:231], a[204:205], v[32:33], a[228:231]// 000000006C48: D3E180E4 0F9241CC
	v_mfma_f32_16x16x16_bf16 a[232:235], a[206:207], v[32:33], a[232:235]// 000000006C50: D3E180E8 0FA241CE
	s_waitcnt lgkmcnt(0)                                       // 000000006C58: BF8CC07F
	v_max3_f32 v24, v20, v21, v24                              // 000000006C5C: D1D30018 04622B14
	v_max3_f32 v24, v22, v23, v24                              // 000000006C64: D1D30018 04622F16
	v_mov_b32_e32 v25, 0xff7fffff                              // 000000006C6C: 7E3202FF FF7FFFFF
	v_cmp_eq_u32_e64 s[38:39], v25, v13                        // 000000006C74: D0CA0026 00021B19
	v_max_f32_e32 v20, v24, v13                                // 000000006C7C: 16281B18
	v_sub_f32_e32 v17, v13, v20                                // 000000006C80: 0422290D
	v_cndmask_b32_e64 v17, v17, 0, s[38:39]                    // 000000006C84: D1000011 00990111
	v_mov_b32_e32 v13, v20                                     // 000000006C8C: 7E1A0314
	v_mul_f32_e32 v21, s5, v20                                 // 000000006C90: 0A2A2805
	v_mul_f32_e32 v17, s5, v17                                 // 000000006C94: 0A222205
	v_exp_f32_e32 v17, v17                                     // 000000006C98: 7E224111
	v_fma_f32 v36, v36, s5, -v21                               // 000000006C9C: D1CB0024 84540B24
	v_fma_f32 v37, v37, s5, -v21                               // 000000006CA4: D1CB0025 84540B25
	v_fma_f32 v38, v38, s5, -v21                               // 000000006CAC: D1CB0026 84540B26
	v_fma_f32 v39, v39, s5, -v21                               // 000000006CB4: D1CB0027 84540B27
	v_exp_f32_e32 v36, v36                                     // 000000006CBC: 7E484124
	v_exp_f32_e32 v37, v37                                     // 000000006CC0: 7E4A4125
	v_exp_f32_e32 v38, v38                                     // 000000006CC4: 7E4C4126
	v_exp_f32_e32 v39, v39                                     // 000000006CC8: 7E4E4127
	v_mul_f32_e32 v15, v17, v15                                // 000000006CCC: 0A1E1F11
	v_mov_b32_e32 v22, v36                                     // 000000006CD0: 7E2C0324
	v_add_f32_e32 v22, v37, v22                                // 000000006CD4: 022C2D25
	v_add_f32_e32 v22, v38, v22                                // 000000006CD8: 022C2D26
	v_add_f32_e32 v22, v39, v22                                // 000000006CDC: 022C2D27
	v_add_f32_e32 v15, v22, v15                                // 000000006CE0: 021E1F16
	v_mov_b32_e32 v29, 0xffff0000                              // 000000006CE4: 7E3A02FF FFFF0000
	v_mov_b32_e32 v30, 0x7fff0000                              // 000000006CEC: 7E3C02FF 7FFF0000
	v_mov_b32_e32 v31, 0x7fff                                  // 000000006CF4: 7E3E02FF 00007FFF
	v_cmp_u_f32_e64 s[38:39], v36, v36                         // 000000006CFC: D0480026 00024924
	v_add3_u32 v28, v36, v31, 1                                // 000000006D04: D1FF001C 02063F24
	v_cndmask_b32_e64 v20, v28, v30, s[38:39]                  // 000000006D0C: D1000014 009A3D1C
	v_cmp_u_f32_e64 s[38:39], v37, v37                         // 000000006D14: D0480026 00024B25
	v_add3_u32 v28, v37, v31, 1                                // 000000006D1C: D1FF001C 02063F25
	v_cndmask_b32_e64 v21, v28, v30, s[38:39]                  // 000000006D24: D1000015 009A3D1C
	v_perm_b32 v36, v21, v20, s52                              // 000000006D2C: D1ED0024 00D22915
	v_cmp_u_f32_e64 s[38:39], v38, v38                         // 000000006D34: D0480026 00024D26
	v_add3_u32 v28, v38, v31, 1                                // 000000006D3C: D1FF001C 02063F26
	v_cndmask_b32_e64 v20, v28, v30, s[38:39]                  // 000000006D44: D1000014 009A3D1C
	v_cmp_u_f32_e64 s[38:39], v39, v39                         // 000000006D4C: D0480026 00024F27
	v_add3_u32 v28, v39, v31, 1                                // 000000006D54: D1FF001C 02063F27
	v_cndmask_b32_e64 v21, v28, v30, s[38:39]                  // 000000006D5C: D1000015 009A3D1C
	v_perm_b32 v37, v21, v20, s52                              // 000000006D64: D1ED0025 00D22915
	s_nop 2                                                    // 000000006D6C: BF800002
	v_mov_b32_e32 v22, v17                                     // 000000006D70: 7E2C0311
	v_mov_b32_e32 v23, v17                                     // 000000006D74: 7E2E0311
	v_pk_mul_f32 v[148:149], v[22:23], v[148:149]              // 000000006D78: D3B14094 18032916
	v_pk_mul_f32 v[150:151], v[22:23], v[150:151]              // 000000006D80: D3B14096 18032D16
	v_pk_mul_f32 v[152:153], v[22:23], v[152:153]              // 000000006D88: D3B14098 18033116
	v_pk_mul_f32 v[154:155], v[22:23], v[154:155]              // 000000006D90: D3B1409A 18033516
	v_pk_mul_f32 v[156:157], v[22:23], v[156:157]              // 000000006D98: D3B1409C 18033916
	v_pk_mul_f32 v[158:159], v[22:23], v[158:159]              // 000000006DA0: D3B1409E 18033D16
	v_pk_mul_f32 v[160:161], v[22:23], v[160:161]              // 000000006DA8: D3B140A0 18034116
	v_pk_mul_f32 v[162:163], v[22:23], v[162:163]              // 000000006DB0: D3B140A2 18034516
	v_pk_mul_f32 v[164:165], v[22:23], v[164:165]              // 000000006DB8: D3B140A4 18034916
	v_pk_mul_f32 v[166:167], v[22:23], v[166:167]              // 000000006DC0: D3B140A6 18034D16
	v_pk_mul_f32 v[168:169], v[22:23], v[168:169]              // 000000006DC8: D3B140A8 18035116
	v_pk_mul_f32 v[170:171], v[22:23], v[170:171]              // 000000006DD0: D3B140AA 18035516
	v_pk_mul_f32 v[172:173], v[22:23], v[172:173]              // 000000006DD8: D3B140AC 18035916
	v_pk_mul_f32 v[174:175], v[22:23], v[174:175]              // 000000006DE0: D3B140AE 18035D16
	v_pk_mul_f32 v[176:177], v[22:23], v[176:177]              // 000000006DE8: D3B140B0 18036116
	v_pk_mul_f32 v[178:179], v[22:23], v[178:179]              // 000000006DF0: D3B140B2 18036516
	v_pk_mul_f32 v[180:181], v[22:23], v[180:181]              // 000000006DF8: D3B140B4 18036916
	v_pk_mul_f32 v[182:183], v[22:23], v[182:183]              // 000000006E00: D3B140B6 18036D16
	v_pk_mul_f32 v[184:185], v[22:23], v[184:185]              // 000000006E08: D3B140B8 18037116
	v_pk_mul_f32 v[186:187], v[22:23], v[186:187]              // 000000006E10: D3B140BA 18037516
	v_pk_mul_f32 v[188:189], v[22:23], v[188:189]              // 000000006E18: D3B140BC 18037916
	v_pk_mul_f32 v[190:191], v[22:23], v[190:191]              // 000000006E20: D3B140BE 18037D16
	v_pk_mul_f32 v[192:193], v[22:23], v[192:193]              // 000000006E28: D3B140C0 18038116
	v_pk_mul_f32 v[194:195], v[22:23], v[194:195]              // 000000006E30: D3B140C2 18038516
	v_pk_mul_f32 v[196:197], v[22:23], v[196:197]              // 000000006E38: D3B140C4 18038916
	v_pk_mul_f32 v[198:199], v[22:23], v[198:199]              // 000000006E40: D3B140C6 18038D16
	v_pk_mul_f32 v[200:201], v[22:23], v[200:201]              // 000000006E48: D3B140C8 18039116
	v_pk_mul_f32 v[202:203], v[22:23], v[202:203]              // 000000006E50: D3B140CA 18039516
	v_pk_mul_f32 v[204:205], v[22:23], v[204:205]              // 000000006E58: D3B140CC 18039916
	v_pk_mul_f32 v[206:207], v[22:23], v[206:207]              // 000000006E60: D3B140CE 18039D16
	v_pk_mul_f32 v[208:209], v[22:23], v[208:209]              // 000000006E68: D3B140D0 1803A116
	v_pk_mul_f32 v[210:211], v[22:23], v[210:211]              // 000000006E70: D3B140D2 1803A516
	v_pk_mul_f32 v[212:213], v[22:23], v[212:213]              // 000000006E78: D3B140D4 1803A916
	v_pk_mul_f32 v[214:215], v[22:23], v[214:215]              // 000000006E80: D3B140D6 1803AD16
	v_pk_mul_f32 v[216:217], v[22:23], v[216:217]              // 000000006E88: D3B140D8 1803B116
	v_pk_mul_f32 v[218:219], v[22:23], v[218:219]              // 000000006E90: D3B140DA 1803B516
	v_pk_mul_f32 v[220:221], v[22:23], v[220:221]              // 000000006E98: D3B140DC 1803B916
	v_pk_mul_f32 v[222:223], v[22:23], v[222:223]              // 000000006EA0: D3B140DE 1803BD16
	v_pk_mul_f32 v[224:225], v[22:23], v[224:225]              // 000000006EA8: D3B140E0 1803C116
	v_pk_mul_f32 v[226:227], v[22:23], v[226:227]              // 000000006EB0: D3B140E2 1803C516
	v_pk_mul_f32 v[228:229], v[22:23], v[228:229]              // 000000006EB8: D3B140E4 1803C916
	v_pk_mul_f32 v[230:231], v[22:23], v[230:231]              // 000000006EC0: D3B140E6 1803CD16
	v_pk_mul_f32 v[232:233], v[22:23], v[232:233]              // 000000006EC8: D3B140E8 1803D116
	v_pk_mul_f32 v[234:235], v[22:23], v[234:235]              // 000000006ED0: D3B140EA 1803D516
	v_pk_mul_f32 v[236:237], v[22:23], v[236:237]              // 000000006ED8: D3B140EC 1803D916
	v_pk_mul_f32 v[238:239], v[22:23], v[238:239]              // 000000006EE0: D3B140EE 1803DD16
	v_pk_mul_f32 v[240:241], v[22:23], v[240:241]              // 000000006EE8: D3B140F0 1803E116
	v_pk_mul_f32 v[242:243], v[22:23], v[242:243]              // 000000006EF0: D3B140F2 1803E516
	v_pk_mul_f32 v[244:245], v[22:23], v[244:245]              // 000000006EF8: D3B140F4 1803E916
	v_pk_mul_f32 v[246:247], v[22:23], v[246:247]              // 000000006F00: D3B140F6 1803ED16
	v_pk_mul_f32 v[248:249], v[22:23], v[248:249]              // 000000006F08: D3B140F8 1803F116
	v_pk_mul_f32 v[250:251], v[22:23], v[250:251]              // 000000006F10: D3B140FA 1803F516
	v_pk_mul_f32 v[252:253], v[22:23], v[252:253]              // 000000006F18: D3B140FC 1803F916
	v_pk_mul_f32 v[254:255], v[22:23], v[254:255]              // 000000006F20: D3B140FE 1803FD16
	v_accvgpr_read_b32 v20, a236                               // 000000006F28: D3D84014 180001EC
	v_accvgpr_read_b32 v21, a237                               // 000000006F30: D3D84015 180001ED
	v_pk_mul_f32 v[20:21], v[22:23], v[20:21]                  // 000000006F38: D3B14014 18022916
	v_accvgpr_write_b32 a236, v20                              // 000000006F40: D3D940EC 18000114
	v_accvgpr_write_b32 a237, v21                              // 000000006F48: D3D940ED 18000115
	v_accvgpr_read_b32 v20, a238                               // 000000006F50: D3D84014 180001EE
	v_accvgpr_read_b32 v21, a239                               // 000000006F58: D3D84015 180001EF
	v_pk_mul_f32 v[20:21], v[22:23], v[20:21]                  // 000000006F60: D3B14014 18022916
	v_accvgpr_write_b32 a238, v20                              // 000000006F68: D3D940EE 18000114
	v_accvgpr_write_b32 a239, v21                              // 000000006F70: D3D940EF 18000115
	v_accvgpr_read_b32 v20, a240                               // 000000006F78: D3D84014 180001F0
	v_accvgpr_read_b32 v21, a241                               // 000000006F80: D3D84015 180001F1
	v_pk_mul_f32 v[20:21], v[22:23], v[20:21]                  // 000000006F88: D3B14014 18022916
	v_accvgpr_write_b32 a240, v20                              // 000000006F90: D3D940F0 18000114
	v_accvgpr_write_b32 a241, v21                              // 000000006F98: D3D940F1 18000115
	v_accvgpr_read_b32 v20, a242                               // 000000006FA0: D3D84014 180001F2
	v_accvgpr_read_b32 v21, a243                               // 000000006FA8: D3D84015 180001F3
	v_pk_mul_f32 v[20:21], v[22:23], v[20:21]                  // 000000006FB0: D3B14014 18022916
	v_accvgpr_write_b32 a242, v20                              // 000000006FB8: D3D940F2 18000114
	v_accvgpr_write_b32 a243, v21                              // 000000006FC0: D3D940F3 18000115
	v_accvgpr_read_b32 v20, a244                               // 000000006FC8: D3D84014 180001F4
	v_accvgpr_read_b32 v21, a245                               // 000000006FD0: D3D84015 180001F5
	v_pk_mul_f32 v[20:21], v[22:23], v[20:21]                  // 000000006FD8: D3B14014 18022916
	v_accvgpr_write_b32 a244, v20                              // 000000006FE0: D3D940F4 18000114
	v_accvgpr_write_b32 a245, v21                              // 000000006FE8: D3D940F5 18000115
	v_accvgpr_read_b32 v20, a246                               // 000000006FF0: D3D84014 180001F6
	v_accvgpr_read_b32 v21, a247                               // 000000006FF8: D3D84015 180001F7
	v_pk_mul_f32 v[20:21], v[22:23], v[20:21]                  // 000000007000: D3B14014 18022916
	v_accvgpr_write_b32 a246, v20                              // 000000007008: D3D940F6 18000114
	v_accvgpr_write_b32 a247, v21                              // 000000007010: D3D940F7 18000115
	v_accvgpr_read_b32 v20, a248                               // 000000007018: D3D84014 180001F8
	v_accvgpr_read_b32 v21, a249                               // 000000007020: D3D84015 180001F9
	v_pk_mul_f32 v[20:21], v[22:23], v[20:21]                  // 000000007028: D3B14014 18022916
	v_accvgpr_write_b32 a248, v20                              // 000000007030: D3D940F8 18000114
	v_accvgpr_write_b32 a249, v21                              // 000000007038: D3D940F9 18000115
	v_accvgpr_read_b32 v20, a250                               // 000000007040: D3D84014 180001FA
	v_accvgpr_read_b32 v21, a251                               // 000000007048: D3D84015 180001FB
	v_pk_mul_f32 v[20:21], v[22:23], v[20:21]                  // 000000007050: D3B14014 18022916
	v_accvgpr_write_b32 a250, v20                              // 000000007058: D3D940FA 18000114
	v_accvgpr_write_b32 a251, v21                              // 000000007060: D3D940FB 18000115
	v_accvgpr_read_b32 v20, a252                               // 000000007068: D3D84014 180001FC
	v_accvgpr_read_b32 v21, a253                               // 000000007070: D3D84015 180001FD
	v_pk_mul_f32 v[20:21], v[22:23], v[20:21]                  // 000000007078: D3B14014 18022916
	v_accvgpr_write_b32 a252, v20                              // 000000007080: D3D940FC 18000114
	v_accvgpr_write_b32 a253, v21                              // 000000007088: D3D940FD 18000115
	v_accvgpr_read_b32 v20, a254                               // 000000007090: D3D84014 180001FE
	v_accvgpr_read_b32 v21, a255                               // 000000007098: D3D84015 180001FF
	v_pk_mul_f32 v[20:21], v[22:23], v[20:21]                  // 0000000070A0: D3B14014 18022916
	v_accvgpr_write_b32 a254, v20                              // 0000000070A8: D3D940FE 18000114
	v_accvgpr_write_b32 a255, v21                              // 0000000070B0: D3D940FF 18000115
	s_waitcnt vmcnt(18) lgkmcnt(0)                             // 0000000070B8: BF8C4072
	s_barrier                                                  // 0000000070BC: BF8A0000
	v_mfma_f32_16x16x16_bf16 v[148:151], a[144:145], v[36:37], v[148:151]// 0000000070C0: D3E10094 0E524990
	ds_read_b64 v[20:21], v5                                   // 0000000070C8: D8EC0000 14000005
	ds_read_b64 v[22:23], v5 offset:4640                       // 0000000070D0: D8EC1220 16000005
	ds_read_b64 v[24:25], v5 offset:9280                       // 0000000070D8: D8EC2440 18000005
	ds_read_b64 v[26:27], v5 offset:13920                      // 0000000070E0: D8EC3660 1A000005
	v_mfma_f32_16x16x16_bf16 v[152:155], a[146:147], v[36:37], v[152:155]// 0000000070E8: D3E10098 0E624992
	v_mfma_f32_16x16x16_bf16 v[156:159], a[148:149], v[36:37], v[156:159]// 0000000070F0: D3E1009C 0E724994
	v_mfma_f32_16x16x16_bf16 v[160:163], a[150:151], v[36:37], v[160:163]// 0000000070F8: D3E100A0 0E824996
	v_mfma_f32_16x16x16_bf16 v[164:167], a[152:153], v[36:37], v[164:167]// 000000007100: D3E100A4 0E924998
	ds_read_b128 a[144:147], v4                                // 000000007108: DBFE0000 90000004
	ds_read_b128 a[148:151], v4 offset:64                      // 000000007110: DBFE0040 94000004
	v_mfma_f32_16x16x16_bf16 v[168:171], a[154:155], v[36:37], v[168:171]// 000000007118: D3E100A8 0EA2499A
	v_mfma_f32_16x16x16_bf16 v[172:175], a[156:157], v[36:37], v[172:175]// 000000007120: D3E100AC 0EB2499C
	s_waitcnt lgkmcnt(2)                                       // 000000007128: BF8CC27F
	v_perm_b32 v28, v22, v20, s53                              // 00000000712C: D1ED001C 00D62916
	v_perm_b32 v30, v22, v20, s52                              // 000000007134: D1ED001E 00D22916
	v_perm_b32 v29, v26, v24, s53                              // 00000000713C: D1ED001D 00D6311A
	v_perm_b32 v31, v26, v24, s52                              // 000000007144: D1ED001F 00D2311A
	v_mfma_f32_16x16x16_bf16 v[176:179], a[158:159], v[36:37], v[176:179]// 00000000714C: D3E100B0 0EC2499E
	v_mfma_f32_16x16x16_bf16 v[180:183], a[160:161], v[36:37], v[180:183]// 000000007154: D3E100B4 0ED249A0
	ds_write_b128 v6, v[28:31] offset:37120                    // 00000000715C: D9BE9100 00001C06
	v_mfma_f32_16x16x16_bf16 v[184:187], a[162:163], v[36:37], v[184:187]// 000000007164: D3E100B8 0EE249A2
	v_mfma_f32_16x16x16_bf16 v[188:191], a[164:165], v[36:37], v[188:191]// 00000000716C: D3E100BC 0EF249A4
	v_perm_b32 v28, v23, v21, s53                              // 000000007174: D1ED001C 00D62B17
	v_perm_b32 v30, v23, v21, s52                              // 00000000717C: D1ED001E 00D22B17
	v_perm_b32 v29, v27, v25, s53                              // 000000007184: D1ED001D 00D6331B
	v_perm_b32 v31, v27, v25, s52                              // 00000000718C: D1ED001F 00D2331B
	v_mfma_f32_16x16x16_bf16 v[192:195], a[166:167], v[36:37], v[192:195]// 000000007194: D3E100C0 0F0249A6
	v_mfma_f32_16x16x16_bf16 v[196:199], a[168:169], v[36:37], v[196:199]// 00000000719C: D3E100C4 0F1249A8
	ds_write_b128 v6, v[28:31] offset:38144                    // 0000000071A4: D9BE9500 00001C06
	v_mfma_f32_16x16x16_bf16 v[200:203], a[170:171], v[36:37], v[200:203]// 0000000071AC: D3E100C8 0F2249AA
	v_mfma_f32_16x16x16_bf16 v[204:207], a[172:173], v[36:37], v[204:207]// 0000000071B4: D3E100CC 0F3249AC
	v_mfma_f32_16x16x16_bf16 v[208:211], a[174:175], v[36:37], v[208:211]// 0000000071BC: D3E100D0 0F4249AE
	v_mfma_f32_16x16x16_bf16 v[212:215], a[176:177], v[36:37], v[212:215]// 0000000071C4: D3E100D4 0F5249B0
	ds_read_b64 v[20:21], v5 offset:1024                       // 0000000071CC: D8EC0400 14000005
	ds_read_b64 v[22:23], v5 offset:5664                       // 0000000071D4: D8EC1620 16000005
	v_mfma_f32_16x16x16_bf16 v[216:219], a[178:179], v[36:37], v[216:219]// 0000000071DC: D3E100D8 0F6249B2
	v_mfma_f32_16x16x16_bf16 v[220:223], a[180:181], v[36:37], v[220:223]// 0000000071E4: D3E100DC 0F7249B4
	ds_read_b64 v[24:25], v5 offset:10304                      // 0000000071EC: D8EC2840 18000005
	ds_read_b64 v[26:27], v5 offset:14944                      // 0000000071F4: D8EC3A60 1A000005
	v_mfma_f32_16x16x16_bf16 v[224:227], a[182:183], v[36:37], v[224:227]// 0000000071FC: D3E100E0 0F8249B6
	v_mfma_f32_16x16x16_bf16 v[228:231], a[184:185], v[36:37], v[228:231]// 000000007204: D3E100E4 0F9249B8
	ds_read_b128 a[152:155], v4 offset:256                     // 00000000720C: DBFE0100 98000004
	ds_read_b128 a[156:159], v4 offset:320                     // 000000007214: DBFE0140 9C000004
	v_mfma_f32_16x16x16_bf16 v[232:235], a[186:187], v[36:37], v[232:235]// 00000000721C: D3E100E8 0FA249BA
	v_mfma_f32_16x16x16_bf16 v[236:239], a[188:189], v[36:37], v[236:239]// 000000007224: D3E100EC 0FB249BC
	v_mfma_f32_16x16x16_bf16 v[240:243], a[190:191], v[36:37], v[240:243]// 00000000722C: D3E100F0 0FC249BE
	v_mfma_f32_16x16x16_bf16 v[244:247], a[192:193], v[36:37], v[244:247]// 000000007234: D3E100F4 0FD249C0
	ds_read_b128 a[160:163], v4 offset:512                     // 00000000723C: DBFE0200 A0000004
	ds_read_b128 a[164:167], v4 offset:576                     // 000000007244: DBFE0240 A4000004
	v_mfma_f32_16x16x16_bf16 v[248:251], a[194:195], v[36:37], v[248:251]// 00000000724C: D3E100F8 0FE249C2
	v_mfma_f32_16x16x16_bf16 v[252:255], a[196:197], v[36:37], v[252:255]// 000000007254: D3E100FC 0FF249C4
	v_mfma_f32_16x16x16_bf16 a[236:239], a[198:199], v[36:37], a[236:239]// 00000000725C: D3E180EC 0FB249C6
	v_mfma_f32_16x16x16_bf16 a[240:243], a[200:201], v[36:37], a[240:243]// 000000007264: D3E180F0 0FC249C8
	ds_read_b128 a[168:171], v4 offset:768                     // 00000000726C: DBFE0300 A8000004
	ds_read_b128 a[172:175], v4 offset:832                     // 000000007274: DBFE0340 AC000004
	v_mfma_f32_16x16x16_bf16 a[244:247], a[202:203], v[36:37], a[244:247]// 00000000727C: D3E180F4 0FD249CA
	v_mfma_f32_16x16x16_bf16 a[248:251], a[204:205], v[36:37], a[248:251]// 000000007284: D3E180F8 0FE249CC
	v_mfma_f32_16x16x16_bf16 a[252:255], a[206:207], v[36:37], a[252:255]// 00000000728C: D3E180FC 0FF249CE
	s_nop 0                                                    // 000000007294: BF800000
	s_addk_i32 s70, 0x1                                        // 000000007298: B7460001
	s_cmp_lt_i32 s70, s71                                      // 00000000729C: BF044746
	s_cbranch_scc0 label_0F9A                                  // 0000000072A0: BF84F6F1
	s_branch label_0F9D                                        // 0000000072A4: BF82F6F3

00000000000072a8 <label_18AA>:
	s_cmp_eq_i32 s48, 0                                        // 0000000072A8: BF008030
	s_cbranch_scc1 label_2133                                  // 0000000072AC: BF850887

00000000000072b0 <label_18AC>:
	s_and_b32 s56, s71, 1                                      // 0000000072B0: 86388147
	s_cmp_eq_i32 s56, 1                                        // 0000000072B4: BF008138
	s_cbranch_scc1 label_1CF1                                  // 0000000072B8: BF850442
	s_waitcnt lgkmcnt(4)                                       // 0000000072BC: BF8CC47F
	v_mfma_f32_16x16x16_bf16 v[32:35], a[144:145], a[0:1], 0   // 0000000072C0: D3E10020 1A020190
	ds_read_b128 a[176:179], v4 offset:1024                    // 0000000072C8: DBFE0400 B0000004
	ds_read_b128 a[180:183], v4 offset:1088                    // 0000000072D0: DBFE0440 B4000004
	v_mfma_f32_16x16x16_bf16 v[32:35], a[146:147], a[2:3], v[32:35]// 0000000072D8: D3E10020 1C820592
	v_mfma_f32_16x16x16_bf16 v[32:35], a[148:149], a[4:5], v[32:35]// 0000000072E0: D3E10020 1C820994
	v_mfma_f32_16x16x16_bf16 v[32:35], a[150:151], a[6:7], v[32:35]// 0000000072E8: D3E10020 1C820D96
	v_mfma_f32_16x16x16_bf16 v[32:35], a[152:153], a[8:9], v[32:35]// 0000000072F0: D3E10020 1C821198
	ds_read_b128 a[184:187], v4 offset:1280                    // 0000000072F8: DBFE0500 B8000004
	ds_read_b128 a[188:191], v4 offset:1344                    // 000000007300: DBFE0540 BC000004
	v_mfma_f32_16x16x16_bf16 v[32:35], a[154:155], a[10:11], v[32:35]// 000000007308: D3E10020 1C82159A
	v_mfma_f32_16x16x16_bf16 v[32:35], a[156:157], a[12:13], v[32:35]// 000000007310: D3E10020 1C82199C
	v_mfma_f32_16x16x16_bf16 v[32:35], a[158:159], a[14:15], v[32:35]// 000000007318: D3E10020 1C821D9E
	s_waitcnt lgkmcnt(4)                                       // 000000007320: BF8CC47F
	v_mfma_f32_16x16x16_bf16 v[32:35], a[160:161], a[16:17], v[32:35]// 000000007324: D3E10020 1C8221A0
	ds_read_b128 a[192:195], v4 offset:1536                    // 00000000732C: DBFE0600 C0000004
	ds_read_b128 a[196:199], v4 offset:1600                    // 000000007334: DBFE0640 C4000004
	v_mfma_f32_16x16x16_bf16 v[32:35], a[162:163], a[18:19], v[32:35]// 00000000733C: D3E10020 1C8225A2
	v_mfma_f32_16x16x16_bf16 v[32:35], a[164:165], a[20:21], v[32:35]// 000000007344: D3E10020 1C8229A4
	v_mfma_f32_16x16x16_bf16 v[32:35], a[166:167], a[22:23], v[32:35]// 00000000734C: D3E10020 1C822DA6
	v_mfma_f32_16x16x16_bf16 v[32:35], a[168:169], a[24:25], v[32:35]// 000000007354: D3E10020 1C8231A8
	ds_read_b128 a[200:203], v4 offset:1792                    // 00000000735C: DBFE0700 C8000004
	ds_read_b128 a[204:207], v4 offset:1856                    // 000000007364: DBFE0740 CC000004
	v_mfma_f32_16x16x16_bf16 v[32:35], a[170:171], a[26:27], v[32:35]// 00000000736C: D3E10020 1C8235AA
	v_mfma_f32_16x16x16_bf16 v[32:35], a[172:173], a[28:29], v[32:35]// 000000007374: D3E10020 1C8239AC
	v_mfma_f32_16x16x16_bf16 v[32:35], a[174:175], a[30:31], v[32:35]// 00000000737C: D3E10020 1C823DAE
	s_waitcnt lgkmcnt(4)                                       // 000000007384: BF8CC47F
	s_barrier                                                  // 000000007388: BF8A0000
	v_mfma_f32_16x16x16_bf16 v[32:35], a[176:177], a[32:33], v[32:35]// 00000000738C: D3E10020 1C8241B0
	ds_read_b128 a[208:211], v4 offset:2048                    // 000000007394: DBFE0800 D0000004
	ds_read_b128 a[212:215], v4 offset:2112                    // 00000000739C: DBFE0840 D4000004
	v_mfma_f32_16x16x16_bf16 v[32:35], a[178:179], a[34:35], v[32:35]// 0000000073A4: D3E10020 1C8245B2
	v_mfma_f32_16x16x16_bf16 v[32:35], a[180:181], a[36:37], v[32:35]// 0000000073AC: D3E10020 1C8249B4
	v_perm_b32 v28, v22, v20, s53                              // 0000000073B4: D1ED001C 00D62916
	v_perm_b32 v30, v22, v20, s52                              // 0000000073BC: D1ED001E 00D22916
	v_perm_b32 v29, v26, v24, s53                              // 0000000073C4: D1ED001D 00D6311A
	v_perm_b32 v31, v26, v24, s52                              // 0000000073CC: D1ED001F 00D2311A
	v_mfma_f32_16x16x16_bf16 v[32:35], a[182:183], a[38:39], v[32:35]// 0000000073D4: D3E10020 1C824DB6
	v_mfma_f32_16x16x16_bf16 v[32:35], a[184:185], a[40:41], v[32:35]// 0000000073DC: D3E10020 1C8251B8
	ds_write_b128 v6, v[28:31] offset:45312                    // 0000000073E4: D9BEB100 00001C06
	v_mfma_f32_16x16x16_bf16 v[32:35], a[186:187], a[42:43], v[32:35]// 0000000073EC: D3E10020 1C8255BA
	v_mfma_f32_16x16x16_bf16 v[32:35], a[188:189], a[44:45], v[32:35]// 0000000073F4: D3E10020 1C8259BC
	v_perm_b32 v28, v23, v21, s53                              // 0000000073FC: D1ED001C 00D62B17
	v_perm_b32 v30, v23, v21, s52                              // 000000007404: D1ED001E 00D22B17
	v_perm_b32 v29, v27, v25, s53                              // 00000000740C: D1ED001D 00D6331B
	v_perm_b32 v31, v27, v25, s52                              // 000000007414: D1ED001F 00D2331B
	v_mfma_f32_16x16x16_bf16 v[32:35], a[190:191], a[46:47], v[32:35]// 00000000741C: D3E10020 1C825DBE
	s_waitcnt lgkmcnt(1)                                       // 000000007424: BF8CC17F
	v_mfma_f32_16x16x16_bf16 v[32:35], a[192:193], a[48:49], v[32:35]// 000000007428: D3E10020 1C8261C0
	ds_write_b128 v6, v[28:31] offset:46336                    // 000000007430: D9BEB500 00001C06
	v_mfma_f32_16x16x16_bf16 v[32:35], a[194:195], a[50:51], v[32:35]// 000000007438: D3E10020 1C8265C2
	v_mfma_f32_16x16x16_bf16 v[32:35], a[196:197], a[52:53], v[32:35]// 000000007440: D3E10020 1C8269C4
	v_mfma_f32_16x16x16_bf16 v[32:35], a[198:199], a[54:55], v[32:35]// 000000007448: D3E10020 1C826DC6
	v_mfma_f32_16x16x16_bf16 v[32:35], a[200:201], a[56:57], v[32:35]// 000000007450: D3E10020 1C8271C8
	v_mfma_f32_16x16x16_bf16 v[32:35], a[202:203], a[58:59], v[32:35]// 000000007458: D3E10020 1C8275CA
	v_mfma_f32_16x16x16_bf16 v[32:35], a[204:205], a[60:61], v[32:35]// 000000007460: D3E10020 1C8279CC
	v_mfma_f32_16x16x16_bf16 v[32:35], a[206:207], a[62:63], v[32:35]// 000000007468: D3E10020 1C827DCE
	v_mfma_f32_16x16x16_bf16 v[32:35], a[208:209], a[64:65], v[32:35]// 000000007470: D3E10020 1C8281D0
	v_mfma_f32_16x16x16_bf16 v[32:35], a[210:211], a[66:67], v[32:35]// 000000007478: D3E10020 1C8285D2
	v_mfma_f32_16x16x16_bf16 v[32:35], a[212:213], a[68:69], v[32:35]// 000000007480: D3E10020 1C8289D4
	v_mfma_f32_16x16x16_bf16 v[32:35], a[214:215], a[70:71], v[32:35]// 000000007488: D3E10020 1C828DD6
	s_cmp_le_i32 s83, s82                                      // 000000007490: BF055253
	s_cbranch_scc1 label_1948                                  // 000000007494: BF850022
	v_mov_b32_e32 v25, 0xff800000                              // 000000007498: 7E3202FF FF800000
	v_mov_b32_e32 v24, s82                                     // 0000000074A0: 7E300252
	s_sub_u32 s56, s83, 15                                     // 0000000074A4: 80B88F53
	v_lshrrev_b32_e32 v20, 4, v0                               // 0000000074A8: 20280084
	v_mul_i32_i24_e32 v20, 4, v20                              // 0000000074AC: 0C282884
	v_add_u32_e32 v20, s56, v20                                // 0000000074B0: 68282838
	v_add_u32_e32 v21, 1, v20                                  // 0000000074B4: 682A2881
	v_add_u32_e32 v22, 2, v20                                  // 0000000074B8: 682C2882
	v_add_u32_e32 v23, 3, v20                                  // 0000000074BC: 682E2883
	v_cmp_le_u32_e64 s[38:39], v20, v24                        // 0000000074C0: D0CB0026 00023114
	v_add_u32_e32 v20, 64, v20                                 // 0000000074C8: 682828C0
	s_nop 0                                                    // 0000000074CC: BF800000
	v_cndmask_b32_e64 v32, v25, v32, s[38:39]                  // 0000000074D0: D1000020 009A4119
	v_cmp_le_u32_e64 s[38:39], v21, v24                        // 0000000074D8: D0CB0026 00023115
	v_add_u32_e32 v21, 64, v21                                 // 0000000074E0: 682A2AC0
	s_nop 0                                                    // 0000000074E4: BF800000
	v_cndmask_b32_e64 v33, v25, v33, s[38:39]                  // 0000000074E8: D1000021 009A4319
	v_cmp_le_u32_e64 s[38:39], v22, v24                        // 0000000074F0: D0CB0026 00023116
	v_add_u32_e32 v22, 64, v22                                 // 0000000074F8: 682C2CC0
	s_nop 0                                                    // 0000000074FC: BF800000
	v_cndmask_b32_e64 v34, v25, v34, s[38:39]                  // 000000007500: D1000022 009A4519
	v_cmp_le_u32_e64 s[38:39], v23, v24                        // 000000007508: D0CB0026 00023117
	v_add_u32_e32 v23, 64, v23                                 // 000000007510: 682E2EC0
	s_nop 0                                                    // 000000007514: BF800000
	v_cndmask_b32_e64 v35, v25, v35, s[38:39]                  // 000000007518: D1000023 009A4719

0000000000007520 <label_1948>:
	s_waitcnt lgkmcnt(0)                                       // 000000007520: BF8CC07F
	s_barrier                                                  // 000000007524: BF8A0000
	v_mov_b32_e32 v25, 0xff800000                              // 000000007528: 7E3202FF FF800000
	s_and_b32 s56, s48, 0xff                                   // 000000007530: 8638FF30 000000FF
	v_mov_b32_e32 v24, s56                                     // 000000007538: 7E300238
	v_lshrrev_b32_e32 v20, 4, v0                               // 00000000753C: 20280084
	v_mul_i32_i24_e32 v20, 4, v20                              // 000000007540: 0C282884
	v_add_u32_e32 v21, 1, v20                                  // 000000007544: 682A2881
	v_add_u32_e32 v22, 2, v20                                  // 000000007548: 682C2882
	v_add_u32_e32 v23, 3, v20                                  // 00000000754C: 682E2883
	v_cmp_lt_u32_e64 s[38:39], v20, v24                        // 000000007550: D0C90026 00023114
	v_add_u32_e32 v20, 64, v20                                 // 000000007558: 682828C0
	s_nop 0                                                    // 00000000755C: BF800000
	v_cndmask_b32_e64 v32, v25, v32, s[38:39]                  // 000000007560: D1000020 009A4119
	v_cmp_lt_u32_e64 s[38:39], v21, v24                        // 000000007568: D0C90026 00023115
	v_add_u32_e32 v21, 64, v21                                 // 000000007570: 682A2AC0
	s_nop 0                                                    // 000000007574: BF800000
	v_cndmask_b32_e64 v33, v25, v33, s[38:39]                  // 000000007578: D1000021 009A4319
	v_cmp_lt_u32_e64 s[38:39], v22, v24                        // 000000007580: D0C90026 00023116
	v_add_u32_e32 v22, 64, v22                                 // 000000007588: 682C2CC0
	s_nop 0                                                    // 00000000758C: BF800000
	v_cndmask_b32_e64 v34, v25, v34, s[38:39]                  // 000000007590: D1000022 009A4519
	v_cmp_lt_u32_e64 s[38:39], v23, v24                        // 000000007598: D0C90026 00023117
	v_add_u32_e32 v23, 64, v23                                 // 0000000075A0: 682E2EC0
	s_nop 0                                                    // 0000000075A4: BF800000
	v_cndmask_b32_e64 v35, v25, v35, s[38:39]                  // 0000000075A8: D1000023 009A4719
	v_mfma_f32_16x16x16_bf16 v[36:39], a[144:145], a[72:73], 0 // 0000000075B0: D3E10024 1A029190
	v_mfma_f32_16x16x16_bf16 v[36:39], a[146:147], a[74:75], v[36:39]// 0000000075B8: D3E10024 1C929592
	v_max3_f32 v24, v32, v33, v32                              // 0000000075C0: D1D30018 04824320
	v_max3_f32 v24, v34, v35, v24                              // 0000000075C8: D1D30018 04624722
	ds_write_b32 v3, v24 offset:53504                          // 0000000075D0: D81AD100 00001803
	v_mfma_f32_16x16x16_bf16 v[36:39], a[148:149], a[76:77], v[36:39]// 0000000075D8: D3E10024 1C929994
	v_mfma_f32_16x16x16_bf16 v[36:39], a[150:151], a[78:79], v[36:39]// 0000000075E0: D3E10024 1C929D96
	v_mfma_f32_16x16x16_bf16 v[36:39], a[152:153], a[80:81], v[36:39]// 0000000075E8: D3E10024 1C92A198
	v_mfma_f32_16x16x16_bf16 v[36:39], a[154:155], a[82:83], v[36:39]// 0000000075F0: D3E10024 1C92A59A
	v_mfma_f32_16x16x16_bf16 v[36:39], a[156:157], a[84:85], v[36:39]// 0000000075F8: D3E10024 1C92A99C
	s_waitcnt lgkmcnt(0)                                       // 000000007600: BF8CC07F
	ds_read_b32 v20, v2 offset:53504                           // 000000007604: D86CD100 14000002
	ds_read_b32 v21, v2 offset:53568                           // 00000000760C: D86CD140 15000002
	v_mfma_f32_16x16x16_bf16 v[36:39], a[158:159], a[86:87], v[36:39]// 000000007614: D3E10024 1C92AD9E
	ds_read_b32 v22, v2 offset:53632                           // 00000000761C: D86CD180 16000002
	ds_read_b32 v23, v2 offset:53696                           // 000000007624: D86CD1C0 17000002
	v_mfma_f32_16x16x16_bf16 v[36:39], a[160:161], a[88:89], v[36:39]// 00000000762C: D3E10024 1C92B1A0
	v_mfma_f32_16x16x16_bf16 v[36:39], a[162:163], a[90:91], v[36:39]// 000000007634: D3E10024 1C92B5A2
	v_mfma_f32_16x16x16_bf16 v[36:39], a[164:165], a[92:93], v[36:39]// 00000000763C: D3E10024 1C92B9A4
	v_mfma_f32_16x16x16_bf16 v[36:39], a[166:167], a[94:95], v[36:39]// 000000007644: D3E10024 1C92BDA6
	v_mfma_f32_16x16x16_bf16 v[36:39], a[168:169], a[96:97], v[36:39]// 00000000764C: D3E10024 1C92C1A8
	v_mfma_f32_16x16x16_bf16 v[36:39], a[170:171], a[98:99], v[36:39]// 000000007654: D3E10024 1C92C5AA
	v_mfma_f32_16x16x16_bf16 v[36:39], a[172:173], a[100:101], v[36:39]// 00000000765C: D3E10024 1C92C9AC
	s_waitcnt lgkmcnt(0)                                       // 000000007664: BF8CC07F
	v_max3_f32 v24, v20, v21, v24                              // 000000007668: D1D30018 04622B14
	v_max3_f32 v24, v22, v23, v24                              // 000000007670: D1D30018 04622F16
	v_mfma_f32_16x16x16_bf16 v[36:39], a[174:175], a[102:103], v[36:39]// 000000007678: D3E10024 1C92CDAE
	v_mfma_f32_16x16x16_bf16 v[36:39], a[176:177], a[104:105], v[36:39]// 000000007680: D3E10024 1C92D1B0
	v_mfma_f32_16x16x16_bf16 v[36:39], a[178:179], a[106:107], v[36:39]// 000000007688: D3E10024 1C92D5B2
	v_mfma_f32_16x16x16_bf16 v[36:39], a[180:181], a[108:109], v[36:39]// 000000007690: D3E10024 1C92D9B4
	v_mfma_f32_16x16x16_bf16 v[36:39], a[182:183], a[110:111], v[36:39]// 000000007698: D3E10024 1C92DDB6
	v_mfma_f32_16x16x16_bf16 v[36:39], a[184:185], a[112:113], v[36:39]// 0000000076A0: D3E10024 1C92E1B8
	ds_read_b128 a[144:147], v7 offset:37120                   // 0000000076A8: DBFE9100 90000007
	ds_read_b128 a[148:151], v7 offset:38144                   // 0000000076B0: DBFE9500 94000007
	v_mfma_f32_16x16x16_bf16 v[36:39], a[186:187], a[114:115], v[36:39]// 0000000076B8: D3E10024 1C92E5BA
	v_mfma_f32_16x16x16_bf16 v[36:39], a[188:189], a[116:117], v[36:39]// 0000000076C0: D3E10024 1C92E9BC
	v_mfma_f32_16x16x16_bf16 v[36:39], a[190:191], a[118:119], v[36:39]// 0000000076C8: D3E10024 1C92EDBE
	v_mfma_f32_16x16x16_bf16 v[36:39], a[192:193], a[120:121], v[36:39]// 0000000076D0: D3E10024 1C92F1C0
	ds_read_b128 a[152:155], v7 offset:39168                   // 0000000076D8: DBFE9900 98000007
	ds_read_b128 a[156:159], v7 offset:40192                   // 0000000076E0: DBFE9D00 9C000007
	v_mfma_f32_16x16x16_bf16 v[36:39], a[194:195], a[122:123], v[36:39]// 0000000076E8: D3E10024 1C92F5C2
	v_mfma_f32_16x16x16_bf16 v[36:39], a[196:197], a[124:125], v[36:39]// 0000000076F0: D3E10024 1C92F9C4
	v_mfma_f32_16x16x16_bf16 v[36:39], a[198:199], a[126:127], v[36:39]// 0000000076F8: D3E10024 1C92FDC6
	v_mfma_f32_16x16x16_bf16 v[36:39], a[200:201], a[128:129], v[36:39]// 000000007700: D3E10024 1C9301C8
	ds_read_b128 a[160:163], v7 offset:41216                   // 000000007708: DBFEA100 A0000007
	ds_read_b128 a[164:167], v7 offset:42240                   // 000000007710: DBFEA500 A4000007
	v_mfma_f32_16x16x16_bf16 v[36:39], a[202:203], a[130:131], v[36:39]// 000000007718: D3E10024 1C9305CA
	v_mfma_f32_16x16x16_bf16 v[36:39], a[204:205], a[132:133], v[36:39]// 000000007720: D3E10024 1C9309CC
	v_mfma_f32_16x16x16_bf16 v[36:39], a[206:207], a[134:135], v[36:39]// 000000007728: D3E10024 1C930DCE
	v_mfma_f32_16x16x16_bf16 v[36:39], a[208:209], a[136:137], v[36:39]// 000000007730: D3E10024 1C9311D0
	ds_read_b128 a[168:171], v7 offset:43264                   // 000000007738: DBFEA900 A8000007
	ds_read_b128 a[172:175], v7 offset:44288                   // 000000007740: DBFEAD00 AC000007
	v_mfma_f32_16x16x16_bf16 v[36:39], a[210:211], a[138:139], v[36:39]// 000000007748: D3E10024 1C9315D2
	v_mfma_f32_16x16x16_bf16 v[36:39], a[212:213], a[140:141], v[36:39]// 000000007750: D3E10024 1C9319D4
	v_mfma_f32_16x16x16_bf16 v[36:39], a[214:215], a[142:143], v[36:39]// 000000007758: D3E10024 1C931DD6
	v_mov_b32_e32 v25, 0xff7fffff                              // 000000007760: 7E3202FF FF7FFFFF
	v_cmp_eq_u32_e64 s[38:39], v25, v12                        // 000000007768: D0CA0026 00021919
	v_max_f32_e32 v20, v24, v12                                // 000000007770: 16281918
	v_sub_f32_e32 v16, v12, v20                                // 000000007774: 0420290C
	v_cndmask_b32_e64 v16, v16, 0, s[38:39]                    // 000000007778: D1000010 00990110
	v_mov_b32_e32 v12, v20                                     // 000000007780: 7E180314
	v_mul_f32_e32 v21, s5, v20                                 // 000000007784: 0A2A2805
	v_mul_f32_e32 v16, s5, v16                                 // 000000007788: 0A202005
	v_exp_f32_e32 v16, v16                                     // 00000000778C: 7E204110
	v_fma_f32 v32, v32, s5, -v21                               // 000000007790: D1CB0020 84540B20
	v_fma_f32 v33, v33, s5, -v21                               // 000000007798: D1CB0021 84540B21
	v_fma_f32 v34, v34, s5, -v21                               // 0000000077A0: D1CB0022 84540B22
	v_fma_f32 v35, v35, s5, -v21                               // 0000000077A8: D1CB0023 84540B23
	v_exp_f32_e32 v32, v32                                     // 0000000077B0: 7E404120
	v_exp_f32_e32 v33, v33                                     // 0000000077B4: 7E424121
	v_exp_f32_e32 v34, v34                                     // 0000000077B8: 7E444122
	v_exp_f32_e32 v35, v35                                     // 0000000077BC: 7E464123
	v_mul_f32_e32 v14, v16, v14                                // 0000000077C0: 0A1C1D10
	v_mov_b32_e32 v22, v32                                     // 0000000077C4: 7E2C0320
	v_add_f32_e32 v22, v33, v22                                // 0000000077C8: 022C2D21
	v_add_f32_e32 v22, v34, v22                                // 0000000077CC: 022C2D22
	v_add_f32_e32 v22, v35, v22                                // 0000000077D0: 022C2D23
	v_add_f32_e32 v14, v22, v14                                // 0000000077D4: 021C1D16
	v_mov_b32_e32 v29, 0xffff0000                              // 0000000077D8: 7E3A02FF FFFF0000
	v_mov_b32_e32 v30, 0x7fff0000                              // 0000000077E0: 7E3C02FF 7FFF0000
	v_mov_b32_e32 v31, 0x7fff                                  // 0000000077E8: 7E3E02FF 00007FFF
	v_cmp_u_f32_e64 s[38:39], v32, v32                         // 0000000077F0: D0480026 00024120
	v_add3_u32 v28, v32, v31, 1                                // 0000000077F8: D1FF001C 02063F20
	v_cndmask_b32_e64 v20, v28, v30, s[38:39]                  // 000000007800: D1000014 009A3D1C
	v_cmp_u_f32_e64 s[38:39], v33, v33                         // 000000007808: D0480026 00024321
	v_add3_u32 v28, v33, v31, 1                                // 000000007810: D1FF001C 02063F21
	v_cndmask_b32_e64 v21, v28, v30, s[38:39]                  // 000000007818: D1000015 009A3D1C
	v_perm_b32 v32, v21, v20, s52                              // 000000007820: D1ED0020 00D22915
	v_cmp_u_f32_e64 s[38:39], v34, v34                         // 000000007828: D0480026 00024522
	v_add3_u32 v28, v34, v31, 1                                // 000000007830: D1FF001C 02063F22
	v_cndmask_b32_e64 v20, v28, v30, s[38:39]                  // 000000007838: D1000014 009A3D1C
	v_cmp_u_f32_e64 s[38:39], v35, v35                         // 000000007840: D0480026 00024723
	v_add3_u32 v28, v35, v31, 1                                // 000000007848: D1FF001C 02063F23
	v_cndmask_b32_e64 v21, v28, v30, s[38:39]                  // 000000007850: D1000015 009A3D1C
	v_perm_b32 v33, v21, v20, s52                              // 000000007858: D1ED0021 00D22915
	s_nop 2                                                    // 000000007860: BF800002
	s_cmp_le_i32 s83, s82                                      // 000000007864: BF055253
	s_cbranch_scc1 label_1A3D                                  // 000000007868: BF850022
	v_mov_b32_e32 v25, 0xff800000                              // 00000000786C: 7E3202FF FF800000
	v_mov_b32_e32 v24, s82                                     // 000000007874: 7E300252
	s_sub_u32 s56, s83, 15                                     // 000000007878: 80B88F53
	v_lshrrev_b32_e32 v20, 4, v0                               // 00000000787C: 20280084
	v_mul_i32_i24_e32 v20, 4, v20                              // 000000007880: 0C282884
	v_add_u32_e32 v20, s56, v20                                // 000000007884: 68282838
	v_add_u32_e32 v21, 1, v20                                  // 000000007888: 682A2881
	v_add_u32_e32 v22, 2, v20                                  // 00000000788C: 682C2882
	v_add_u32_e32 v23, 3, v20                                  // 000000007890: 682E2883
	v_cmp_le_u32_e64 s[38:39], v20, v24                        // 000000007894: D0CB0026 00023114
	v_add_u32_e32 v20, 64, v20                                 // 00000000789C: 682828C0
	s_nop 0                                                    // 0000000078A0: BF800000
	v_cndmask_b32_e64 v36, v25, v36, s[38:39]                  // 0000000078A4: D1000024 009A4919
	v_cmp_le_u32_e64 s[38:39], v21, v24                        // 0000000078AC: D0CB0026 00023115
	v_add_u32_e32 v21, 64, v21                                 // 0000000078B4: 682A2AC0
	s_nop 0                                                    // 0000000078B8: BF800000
	v_cndmask_b32_e64 v37, v25, v37, s[38:39]                  // 0000000078BC: D1000025 009A4B19
	v_cmp_le_u32_e64 s[38:39], v22, v24                        // 0000000078C4: D0CB0026 00023116
	v_add_u32_e32 v22, 64, v22                                 // 0000000078CC: 682C2CC0
	s_nop 0                                                    // 0000000078D0: BF800000
	v_cndmask_b32_e64 v38, v25, v38, s[38:39]                  // 0000000078D4: D1000026 009A4D19
	v_cmp_le_u32_e64 s[38:39], v23, v24                        // 0000000078DC: D0CB0026 00023117
	v_add_u32_e32 v23, 64, v23                                 // 0000000078E4: 682E2EC0
	s_nop 0                                                    // 0000000078E8: BF800000
	v_cndmask_b32_e64 v39, v25, v39, s[38:39]                  // 0000000078EC: D1000027 009A4F19

00000000000078f4 <label_1A3D>:
	s_add_u32 s83, s84, s83                                    // 0000000078F4: 80535354
	s_nop 0                                                    // 0000000078F8: BF800000
	v_mov_b32_e32 v22, v16                                     // 0000000078FC: 7E2C0310
	v_mov_b32_e32 v23, v16                                     // 000000007900: 7E2E0310
	v_pk_mul_f32 v[40:41], v[22:23], v[40:41]                  // 000000007904: D3B14028 18025116
	v_pk_mul_f32 v[42:43], v[22:23], v[42:43]                  // 00000000790C: D3B1402A 18025516
	v_pk_mul_f32 v[44:45], v[22:23], v[44:45]                  // 000000007914: D3B1402C 18025916
	v_pk_mul_f32 v[46:47], v[22:23], v[46:47]                  // 00000000791C: D3B1402E 18025D16
	v_pk_mul_f32 v[48:49], v[22:23], v[48:49]                  // 000000007924: D3B14030 18026116
	v_pk_mul_f32 v[50:51], v[22:23], v[50:51]                  // 00000000792C: D3B14032 18026516
	v_pk_mul_f32 v[52:53], v[22:23], v[52:53]                  // 000000007934: D3B14034 18026916
	v_pk_mul_f32 v[54:55], v[22:23], v[54:55]                  // 00000000793C: D3B14036 18026D16
	v_pk_mul_f32 v[56:57], v[22:23], v[56:57]                  // 000000007944: D3B14038 18027116
	v_pk_mul_f32 v[58:59], v[22:23], v[58:59]                  // 00000000794C: D3B1403A 18027516
	v_pk_mul_f32 v[60:61], v[22:23], v[60:61]                  // 000000007954: D3B1403C 18027916
	v_pk_mul_f32 v[62:63], v[22:23], v[62:63]                  // 00000000795C: D3B1403E 18027D16
	v_pk_mul_f32 v[64:65], v[22:23], v[64:65]                  // 000000007964: D3B14040 18028116
	v_pk_mul_f32 v[66:67], v[22:23], v[66:67]                  // 00000000796C: D3B14042 18028516
	v_pk_mul_f32 v[68:69], v[22:23], v[68:69]                  // 000000007974: D3B14044 18028916
	v_pk_mul_f32 v[70:71], v[22:23], v[70:71]                  // 00000000797C: D3B14046 18028D16
	v_pk_mul_f32 v[72:73], v[22:23], v[72:73]                  // 000000007984: D3B14048 18029116
	v_pk_mul_f32 v[74:75], v[22:23], v[74:75]                  // 00000000798C: D3B1404A 18029516
	v_pk_mul_f32 v[76:77], v[22:23], v[76:77]                  // 000000007994: D3B1404C 18029916
	v_pk_mul_f32 v[78:79], v[22:23], v[78:79]                  // 00000000799C: D3B1404E 18029D16
	v_pk_mul_f32 v[80:81], v[22:23], v[80:81]                  // 0000000079A4: D3B14050 1802A116
	v_pk_mul_f32 v[82:83], v[22:23], v[82:83]                  // 0000000079AC: D3B14052 1802A516
	v_pk_mul_f32 v[84:85], v[22:23], v[84:85]                  // 0000000079B4: D3B14054 1802A916
	v_pk_mul_f32 v[86:87], v[22:23], v[86:87]                  // 0000000079BC: D3B14056 1802AD16
	v_pk_mul_f32 v[88:89], v[22:23], v[88:89]                  // 0000000079C4: D3B14058 1802B116
	v_pk_mul_f32 v[90:91], v[22:23], v[90:91]                  // 0000000079CC: D3B1405A 1802B516
	v_pk_mul_f32 v[92:93], v[22:23], v[92:93]                  // 0000000079D4: D3B1405C 1802B916
	v_pk_mul_f32 v[94:95], v[22:23], v[94:95]                  // 0000000079DC: D3B1405E 1802BD16
	v_pk_mul_f32 v[96:97], v[22:23], v[96:97]                  // 0000000079E4: D3B14060 1802C116
	v_pk_mul_f32 v[98:99], v[22:23], v[98:99]                  // 0000000079EC: D3B14062 1802C516
	v_pk_mul_f32 v[100:101], v[22:23], v[100:101]              // 0000000079F4: D3B14064 1802C916
	v_pk_mul_f32 v[102:103], v[22:23], v[102:103]              // 0000000079FC: D3B14066 1802CD16
	v_pk_mul_f32 v[104:105], v[22:23], v[104:105]              // 000000007A04: D3B14068 1802D116
	v_pk_mul_f32 v[106:107], v[22:23], v[106:107]              // 000000007A0C: D3B1406A 1802D516
	v_pk_mul_f32 v[108:109], v[22:23], v[108:109]              // 000000007A14: D3B1406C 1802D916
	v_pk_mul_f32 v[110:111], v[22:23], v[110:111]              // 000000007A1C: D3B1406E 1802DD16
	v_pk_mul_f32 v[112:113], v[22:23], v[112:113]              // 000000007A24: D3B14070 1802E116
	v_pk_mul_f32 v[114:115], v[22:23], v[114:115]              // 000000007A2C: D3B14072 1802E516
	v_pk_mul_f32 v[116:117], v[22:23], v[116:117]              // 000000007A34: D3B14074 1802E916
	v_pk_mul_f32 v[118:119], v[22:23], v[118:119]              // 000000007A3C: D3B14076 1802ED16
	v_pk_mul_f32 v[120:121], v[22:23], v[120:121]              // 000000007A44: D3B14078 1802F116
	v_pk_mul_f32 v[122:123], v[22:23], v[122:123]              // 000000007A4C: D3B1407A 1802F516
	v_pk_mul_f32 v[124:125], v[22:23], v[124:125]              // 000000007A54: D3B1407C 1802F916
	v_pk_mul_f32 v[126:127], v[22:23], v[126:127]              // 000000007A5C: D3B1407E 1802FD16
	v_pk_mul_f32 v[128:129], v[22:23], v[128:129]              // 000000007A64: D3B14080 18030116
	v_pk_mul_f32 v[130:131], v[22:23], v[130:131]              // 000000007A6C: D3B14082 18030516
	v_pk_mul_f32 v[132:133], v[22:23], v[132:133]              // 000000007A74: D3B14084 18030916
	v_pk_mul_f32 v[134:135], v[22:23], v[134:135]              // 000000007A7C: D3B14086 18030D16
	v_pk_mul_f32 v[136:137], v[22:23], v[136:137]              // 000000007A84: D3B14088 18031116
	v_pk_mul_f32 v[138:139], v[22:23], v[138:139]              // 000000007A8C: D3B1408A 18031516
	v_pk_mul_f32 v[140:141], v[22:23], v[140:141]              // 000000007A94: D3B1408C 18031916
	v_pk_mul_f32 v[142:143], v[22:23], v[142:143]              // 000000007A9C: D3B1408E 18031D16
	v_pk_mul_f32 v[144:145], v[22:23], v[144:145]              // 000000007AA4: D3B14090 18032116
	v_pk_mul_f32 v[146:147], v[22:23], v[146:147]              // 000000007AAC: D3B14092 18032516
	v_accvgpr_read_b32 v20, a216                               // 000000007AB4: D3D84014 180001D8
	v_accvgpr_read_b32 v21, a217                               // 000000007ABC: D3D84015 180001D9
	v_pk_mul_f32 v[20:21], v[22:23], v[20:21]                  // 000000007AC4: D3B14014 18022916
	v_accvgpr_write_b32 a216, v20                              // 000000007ACC: D3D940D8 18000114
	v_accvgpr_write_b32 a217, v21                              // 000000007AD4: D3D940D9 18000115
	v_accvgpr_read_b32 v20, a218                               // 000000007ADC: D3D84014 180001DA
	v_accvgpr_read_b32 v21, a219                               // 000000007AE4: D3D84015 180001DB
	v_pk_mul_f32 v[20:21], v[22:23], v[20:21]                  // 000000007AEC: D3B14014 18022916
	v_accvgpr_write_b32 a218, v20                              // 000000007AF4: D3D940DA 18000114
	v_accvgpr_write_b32 a219, v21                              // 000000007AFC: D3D940DB 18000115
	v_accvgpr_read_b32 v20, a220                               // 000000007B04: D3D84014 180001DC
	v_accvgpr_read_b32 v21, a221                               // 000000007B0C: D3D84015 180001DD
	v_pk_mul_f32 v[20:21], v[22:23], v[20:21]                  // 000000007B14: D3B14014 18022916
	v_accvgpr_write_b32 a220, v20                              // 000000007B1C: D3D940DC 18000114
	v_accvgpr_write_b32 a221, v21                              // 000000007B24: D3D940DD 18000115
	v_accvgpr_read_b32 v20, a222                               // 000000007B2C: D3D84014 180001DE
	v_accvgpr_read_b32 v21, a223                               // 000000007B34: D3D84015 180001DF
	v_pk_mul_f32 v[20:21], v[22:23], v[20:21]                  // 000000007B3C: D3B14014 18022916
	v_accvgpr_write_b32 a222, v20                              // 000000007B44: D3D940DE 18000114
	v_accvgpr_write_b32 a223, v21                              // 000000007B4C: D3D940DF 18000115
	v_accvgpr_read_b32 v20, a224                               // 000000007B54: D3D84014 180001E0
	v_accvgpr_read_b32 v21, a225                               // 000000007B5C: D3D84015 180001E1
	v_pk_mul_f32 v[20:21], v[22:23], v[20:21]                  // 000000007B64: D3B14014 18022916
	v_accvgpr_write_b32 a224, v20                              // 000000007B6C: D3D940E0 18000114
	v_accvgpr_write_b32 a225, v21                              // 000000007B74: D3D940E1 18000115
	v_accvgpr_read_b32 v20, a226                               // 000000007B7C: D3D84014 180001E2
	v_accvgpr_read_b32 v21, a227                               // 000000007B84: D3D84015 180001E3
	v_pk_mul_f32 v[20:21], v[22:23], v[20:21]                  // 000000007B8C: D3B14014 18022916
	v_accvgpr_write_b32 a226, v20                              // 000000007B94: D3D940E2 18000114
	v_accvgpr_write_b32 a227, v21                              // 000000007B9C: D3D940E3 18000115
	v_accvgpr_read_b32 v20, a228                               // 000000007BA4: D3D84014 180001E4
	v_accvgpr_read_b32 v21, a229                               // 000000007BAC: D3D84015 180001E5
	v_pk_mul_f32 v[20:21], v[22:23], v[20:21]                  // 000000007BB4: D3B14014 18022916
	v_accvgpr_write_b32 a228, v20                              // 000000007BBC: D3D940E4 18000114
	v_accvgpr_write_b32 a229, v21                              // 000000007BC4: D3D940E5 18000115
	v_accvgpr_read_b32 v20, a230                               // 000000007BCC: D3D84014 180001E6
	v_accvgpr_read_b32 v21, a231                               // 000000007BD4: D3D84015 180001E7
	v_pk_mul_f32 v[20:21], v[22:23], v[20:21]                  // 000000007BDC: D3B14014 18022916
	v_accvgpr_write_b32 a230, v20                              // 000000007BE4: D3D940E6 18000114
	v_accvgpr_write_b32 a231, v21                              // 000000007BEC: D3D940E7 18000115
	v_accvgpr_read_b32 v20, a232                               // 000000007BF4: D3D84014 180001E8
	v_accvgpr_read_b32 v21, a233                               // 000000007BFC: D3D84015 180001E9
	v_pk_mul_f32 v[20:21], v[22:23], v[20:21]                  // 000000007C04: D3B14014 18022916
	v_accvgpr_write_b32 a232, v20                              // 000000007C0C: D3D940E8 18000114
	v_accvgpr_write_b32 a233, v21                              // 000000007C14: D3D940E9 18000115
	v_accvgpr_read_b32 v20, a234                               // 000000007C1C: D3D84014 180001EA
	v_accvgpr_read_b32 v21, a235                               // 000000007C24: D3D84015 180001EB
	v_pk_mul_f32 v[20:21], v[22:23], v[20:21]                  // 000000007C2C: D3B14014 18022916
	v_accvgpr_write_b32 a234, v20                              // 000000007C34: D3D940EA 18000114
	v_accvgpr_write_b32 a235, v21                              // 000000007C3C: D3D940EB 18000115
	s_waitcnt lgkmcnt(0)                                       // 000000007C44: BF8CC07F
	v_mov_b32_e32 v25, 0xff800000                              // 000000007C48: 7E3202FF FF800000
	s_and_b32 s56, s48, 0xff                                   // 000000007C50: 8638FF30 000000FF
	v_mov_b32_e32 v24, s56                                     // 000000007C58: 7E300238
	v_lshrrev_b32_e32 v20, 4, v0                               // 000000007C5C: 20280084
	v_mul_i32_i24_e32 v20, 4, v20                              // 000000007C60: 0C282884
	v_add_u32_e32 v21, 1, v20                                  // 000000007C64: 682A2881
	v_add_u32_e32 v22, 2, v20                                  // 000000007C68: 682C2882
	v_add_u32_e32 v23, 3, v20                                  // 000000007C6C: 682E2883
	v_cmp_lt_u32_e64 s[38:39], v20, v24                        // 000000007C70: D0C90026 00023114
	v_add_u32_e32 v20, 64, v20                                 // 000000007C78: 682828C0
	s_nop 0                                                    // 000000007C7C: BF800000
	v_cndmask_b32_e64 v36, v25, v36, s[38:39]                  // 000000007C80: D1000024 009A4919
	v_cmp_lt_u32_e64 s[38:39], v21, v24                        // 000000007C88: D0C90026 00023115
	v_add_u32_e32 v21, 64, v21                                 // 000000007C90: 682A2AC0
	s_nop 0                                                    // 000000007C94: BF800000
	v_cndmask_b32_e64 v37, v25, v37, s[38:39]                  // 000000007C98: D1000025 009A4B19
	v_cmp_lt_u32_e64 s[38:39], v22, v24                        // 000000007CA0: D0C90026 00023116
	v_add_u32_e32 v22, 64, v22                                 // 000000007CA8: 682C2CC0
	s_nop 0                                                    // 000000007CAC: BF800000
	v_cndmask_b32_e64 v38, v25, v38, s[38:39]                  // 000000007CB0: D1000026 009A4D19
	v_cmp_lt_u32_e64 s[38:39], v23, v24                        // 000000007CB8: D0C90026 00023117
	v_add_u32_e32 v23, 64, v23                                 // 000000007CC0: 682E2EC0
	s_nop 0                                                    // 000000007CC4: BF800000
	v_cndmask_b32_e64 v39, v25, v39, s[38:39]                  // 000000007CC8: D1000027 009A4F19
	v_mfma_f32_16x16x16_bf16 v[40:43], a[144:145], v[32:33], v[40:43]// 000000007CD0: D3E10028 0CA24190
	ds_read_b128 a[176:179], v7 offset:45312                   // 000000007CD8: DBFEB100 B0000007
	ds_read_b128 a[180:183], v7 offset:46336                   // 000000007CE0: DBFEB500 B4000007
	v_mfma_f32_16x16x16_bf16 v[44:47], a[146:147], v[32:33], v[44:47]// 000000007CE8: D3E1002C 0CB24192
	v_mfma_f32_16x16x16_bf16 v[48:51], a[148:149], v[32:33], v[48:51]// 000000007CF0: D3E10030 0CC24194
	v_mfma_f32_16x16x16_bf16 v[52:55], a[150:151], v[32:33], v[52:55]// 000000007CF8: D3E10034 0CD24196
	v_mfma_f32_16x16x16_bf16 v[56:59], a[152:153], v[32:33], v[56:59]// 000000007D00: D3E10038 0CE24198
	ds_read_b128 a[184:187], v7 offset:47360                   // 000000007D08: DBFEB900 B8000007
	ds_read_b128 a[188:191], v7 offset:48384                   // 000000007D10: DBFEBD00 BC000007
	v_mfma_f32_16x16x16_bf16 v[60:63], a[154:155], v[32:33], v[60:63]// 000000007D18: D3E1003C 0CF2419A
	v_mfma_f32_16x16x16_bf16 v[64:67], a[156:157], v[32:33], v[64:67]// 000000007D20: D3E10040 0D02419C
	v_mfma_f32_16x16x16_bf16 v[68:71], a[158:159], v[32:33], v[68:71]// 000000007D28: D3E10044 0D12419E
	v_mfma_f32_16x16x16_bf16 v[72:75], a[160:161], v[32:33], v[72:75]// 000000007D30: D3E10048 0D2241A0
	ds_read_b128 a[192:195], v7 offset:49408                   // 000000007D38: DBFEC100 C0000007
	ds_read_b128 a[196:199], v7 offset:50432                   // 000000007D40: DBFEC500 C4000007
	v_mfma_f32_16x16x16_bf16 v[76:79], a[162:163], v[32:33], v[76:79]// 000000007D48: D3E1004C 0D3241A2
	v_mfma_f32_16x16x16_bf16 v[80:83], a[164:165], v[32:33], v[80:83]// 000000007D50: D3E10050 0D4241A4
	v_mfma_f32_16x16x16_bf16 v[84:87], a[166:167], v[32:33], v[84:87]// 000000007D58: D3E10054 0D5241A6
	v_mfma_f32_16x16x16_bf16 v[88:91], a[168:169], v[32:33], v[88:91]// 000000007D60: D3E10058 0D6241A8
	ds_read_b128 a[200:203], v7 offset:51456                   // 000000007D68: DBFEC900 C8000007
	ds_read_b128 a[204:207], v7 offset:52480                   // 000000007D70: DBFECD00 CC000007
	v_mfma_f32_16x16x16_bf16 v[92:95], a[170:171], v[32:33], v[92:95]// 000000007D78: D3E1005C 0D7241AA
	v_mfma_f32_16x16x16_bf16 v[96:99], a[172:173], v[32:33], v[96:99]// 000000007D80: D3E10060 0D8241AC
	v_mfma_f32_16x16x16_bf16 v[100:103], a[174:175], v[32:33], v[100:103]// 000000007D88: D3E10064 0D9241AE
	s_waitcnt lgkmcnt(4)                                       // 000000007D90: BF8CC47F
	v_mfma_f32_16x16x16_bf16 v[104:107], a[176:177], v[32:33], v[104:107]// 000000007D94: D3E10068 0DA241B0
	v_max3_f32 v24, v36, v37, v36                              // 000000007D9C: D1D30018 04924B24
	v_max3_f32 v24, v38, v39, v24                              // 000000007DA4: D1D30018 04624F26
	ds_write_b32 v3, v24 offset:54528                          // 000000007DAC: D81AD500 00001803
	v_mfma_f32_16x16x16_bf16 v[108:111], a[178:179], v[32:33], v[108:111]// 000000007DB4: D3E1006C 0DB241B2
	v_mfma_f32_16x16x16_bf16 v[112:115], a[180:181], v[32:33], v[112:115]// 000000007DBC: D3E10070 0DC241B4
	v_mfma_f32_16x16x16_bf16 v[116:119], a[182:183], v[32:33], v[116:119]// 000000007DC4: D3E10074 0DD241B6
	v_mfma_f32_16x16x16_bf16 v[120:123], a[184:185], v[32:33], v[120:123]// 000000007DCC: D3E10078 0DE241B8
	v_mfma_f32_16x16x16_bf16 v[124:127], a[186:187], v[32:33], v[124:127]// 000000007DD4: D3E1007C 0DF241BA
	v_mfma_f32_16x16x16_bf16 v[128:131], a[188:189], v[32:33], v[128:131]// 000000007DDC: D3E10080 0E0241BC
	v_mfma_f32_16x16x16_bf16 v[132:135], a[190:191], v[32:33], v[132:135]// 000000007DE4: D3E10084 0E1241BE
	s_waitcnt lgkmcnt(0)                                       // 000000007DEC: BF8CC07F
	v_mfma_f32_16x16x16_bf16 v[136:139], a[192:193], v[32:33], v[136:139]// 000000007DF0: D3E10088 0E2241C0
	s_waitcnt lgkmcnt(0)                                       // 000000007DF8: BF8CC07F
	ds_read_b32 v20, v2 offset:54528                           // 000000007DFC: D86CD500 14000002
	ds_read_b32 v21, v2 offset:54592                           // 000000007E04: D86CD540 15000002
	v_mfma_f32_16x16x16_bf16 v[140:143], a[194:195], v[32:33], v[140:143]// 000000007E0C: D3E1008C 0E3241C2
	ds_read_b32 v22, v2 offset:54656                           // 000000007E14: D86CD580 16000002
	ds_read_b32 v23, v2 offset:54720                           // 000000007E1C: D86CD5C0 17000002
	v_mfma_f32_16x16x16_bf16 v[144:147], a[196:197], v[32:33], v[144:147]// 000000007E24: D3E10090 0E4241C4
	v_mfma_f32_16x16x16_bf16 a[216:219], a[198:199], v[32:33], a[216:219]// 000000007E2C: D3E180D8 0F6241C6
	v_mfma_f32_16x16x16_bf16 a[220:223], a[200:201], v[32:33], a[220:223]// 000000007E34: D3E180DC 0F7241C8
	v_mfma_f32_16x16x16_bf16 a[224:227], a[202:203], v[32:33], a[224:227]// 000000007E3C: D3E180E0 0F8241CA
	v_mfma_f32_16x16x16_bf16 a[228:231], a[204:205], v[32:33], a[228:231]// 000000007E44: D3E180E4 0F9241CC
	v_mfma_f32_16x16x16_bf16 a[232:235], a[206:207], v[32:33], a[232:235]// 000000007E4C: D3E180E8 0FA241CE
	s_waitcnt lgkmcnt(0)                                       // 000000007E54: BF8CC07F
	v_max3_f32 v24, v20, v21, v24                              // 000000007E58: D1D30018 04622B14
	v_max3_f32 v24, v22, v23, v24                              // 000000007E60: D1D30018 04622F16
	v_mov_b32_e32 v25, 0xff7fffff                              // 000000007E68: 7E3202FF FF7FFFFF
	v_cmp_eq_u32_e64 s[38:39], v25, v13                        // 000000007E70: D0CA0026 00021B19
	v_max_f32_e32 v20, v24, v13                                // 000000007E78: 16281B18
	v_sub_f32_e32 v17, v13, v20                                // 000000007E7C: 0422290D
	v_cndmask_b32_e64 v17, v17, 0, s[38:39]                    // 000000007E80: D1000011 00990111
	v_mov_b32_e32 v13, v20                                     // 000000007E88: 7E1A0314
	v_mul_f32_e32 v21, s5, v20                                 // 000000007E8C: 0A2A2805
	v_mul_f32_e32 v17, s5, v17                                 // 000000007E90: 0A222205
	v_exp_f32_e32 v17, v17                                     // 000000007E94: 7E224111
	v_fma_f32 v36, v36, s5, -v21                               // 000000007E98: D1CB0024 84540B24
	v_fma_f32 v37, v37, s5, -v21                               // 000000007EA0: D1CB0025 84540B25
	v_fma_f32 v38, v38, s5, -v21                               // 000000007EA8: D1CB0026 84540B26
	v_fma_f32 v39, v39, s5, -v21                               // 000000007EB0: D1CB0027 84540B27
	v_exp_f32_e32 v36, v36                                     // 000000007EB8: 7E484124
	v_exp_f32_e32 v37, v37                                     // 000000007EBC: 7E4A4125
	v_exp_f32_e32 v38, v38                                     // 000000007EC0: 7E4C4126
	v_exp_f32_e32 v39, v39                                     // 000000007EC4: 7E4E4127
	v_mul_f32_e32 v15, v17, v15                                // 000000007EC8: 0A1E1F11
	v_mov_b32_e32 v22, v36                                     // 000000007ECC: 7E2C0324
	v_add_f32_e32 v22, v37, v22                                // 000000007ED0: 022C2D25
	v_add_f32_e32 v22, v38, v22                                // 000000007ED4: 022C2D26
	v_add_f32_e32 v22, v39, v22                                // 000000007ED8: 022C2D27
	v_add_f32_e32 v15, v22, v15                                // 000000007EDC: 021E1F16
	v_mov_b32_e32 v29, 0xffff0000                              // 000000007EE0: 7E3A02FF FFFF0000
	v_mov_b32_e32 v30, 0x7fff0000                              // 000000007EE8: 7E3C02FF 7FFF0000
	v_mov_b32_e32 v31, 0x7fff                                  // 000000007EF0: 7E3E02FF 00007FFF
	v_cmp_u_f32_e64 s[38:39], v36, v36                         // 000000007EF8: D0480026 00024924
	v_add3_u32 v28, v36, v31, 1                                // 000000007F00: D1FF001C 02063F24
	v_cndmask_b32_e64 v20, v28, v30, s[38:39]                  // 000000007F08: D1000014 009A3D1C
	v_cmp_u_f32_e64 s[38:39], v37, v37                         // 000000007F10: D0480026 00024B25
	v_add3_u32 v28, v37, v31, 1                                // 000000007F18: D1FF001C 02063F25
	v_cndmask_b32_e64 v21, v28, v30, s[38:39]                  // 000000007F20: D1000015 009A3D1C
	v_perm_b32 v36, v21, v20, s52                              // 000000007F28: D1ED0024 00D22915
	v_cmp_u_f32_e64 s[38:39], v38, v38                         // 000000007F30: D0480026 00024D26
	v_add3_u32 v28, v38, v31, 1                                // 000000007F38: D1FF001C 02063F26
	v_cndmask_b32_e64 v20, v28, v30, s[38:39]                  // 000000007F40: D1000014 009A3D1C
	v_cmp_u_f32_e64 s[38:39], v39, v39                         // 000000007F48: D0480026 00024F27
	v_add3_u32 v28, v39, v31, 1                                // 000000007F50: D1FF001C 02063F27
	v_cndmask_b32_e64 v21, v28, v30, s[38:39]                  // 000000007F58: D1000015 009A3D1C
	v_perm_b32 v37, v21, v20, s52                              // 000000007F60: D1ED0025 00D22915
	s_nop 2                                                    // 000000007F68: BF800002
	v_mov_b32_e32 v22, v17                                     // 000000007F6C: 7E2C0311
	v_mov_b32_e32 v23, v17                                     // 000000007F70: 7E2E0311
	v_pk_mul_f32 v[148:149], v[22:23], v[148:149]              // 000000007F74: D3B14094 18032916
	v_pk_mul_f32 v[150:151], v[22:23], v[150:151]              // 000000007F7C: D3B14096 18032D16
	v_pk_mul_f32 v[152:153], v[22:23], v[152:153]              // 000000007F84: D3B14098 18033116
	v_pk_mul_f32 v[154:155], v[22:23], v[154:155]              // 000000007F8C: D3B1409A 18033516
	v_pk_mul_f32 v[156:157], v[22:23], v[156:157]              // 000000007F94: D3B1409C 18033916
	v_pk_mul_f32 v[158:159], v[22:23], v[158:159]              // 000000007F9C: D3B1409E 18033D16
	v_pk_mul_f32 v[160:161], v[22:23], v[160:161]              // 000000007FA4: D3B140A0 18034116
	v_pk_mul_f32 v[162:163], v[22:23], v[162:163]              // 000000007FAC: D3B140A2 18034516
	v_pk_mul_f32 v[164:165], v[22:23], v[164:165]              // 000000007FB4: D3B140A4 18034916
	v_pk_mul_f32 v[166:167], v[22:23], v[166:167]              // 000000007FBC: D3B140A6 18034D16
	v_pk_mul_f32 v[168:169], v[22:23], v[168:169]              // 000000007FC4: D3B140A8 18035116
	v_pk_mul_f32 v[170:171], v[22:23], v[170:171]              // 000000007FCC: D3B140AA 18035516
	v_pk_mul_f32 v[172:173], v[22:23], v[172:173]              // 000000007FD4: D3B140AC 18035916
	v_pk_mul_f32 v[174:175], v[22:23], v[174:175]              // 000000007FDC: D3B140AE 18035D16
	v_pk_mul_f32 v[176:177], v[22:23], v[176:177]              // 000000007FE4: D3B140B0 18036116
	v_pk_mul_f32 v[178:179], v[22:23], v[178:179]              // 000000007FEC: D3B140B2 18036516
	v_pk_mul_f32 v[180:181], v[22:23], v[180:181]              // 000000007FF4: D3B140B4 18036916
	v_pk_mul_f32 v[182:183], v[22:23], v[182:183]              // 000000007FFC: D3B140B6 18036D16
	v_pk_mul_f32 v[184:185], v[22:23], v[184:185]              // 000000008004: D3B140B8 18037116
	v_pk_mul_f32 v[186:187], v[22:23], v[186:187]              // 00000000800C: D3B140BA 18037516
	v_pk_mul_f32 v[188:189], v[22:23], v[188:189]              // 000000008014: D3B140BC 18037916
	v_pk_mul_f32 v[190:191], v[22:23], v[190:191]              // 00000000801C: D3B140BE 18037D16
	v_pk_mul_f32 v[192:193], v[22:23], v[192:193]              // 000000008024: D3B140C0 18038116
	v_pk_mul_f32 v[194:195], v[22:23], v[194:195]              // 00000000802C: D3B140C2 18038516
	v_pk_mul_f32 v[196:197], v[22:23], v[196:197]              // 000000008034: D3B140C4 18038916
	v_pk_mul_f32 v[198:199], v[22:23], v[198:199]              // 00000000803C: D3B140C6 18038D16
	v_pk_mul_f32 v[200:201], v[22:23], v[200:201]              // 000000008044: D3B140C8 18039116
	v_pk_mul_f32 v[202:203], v[22:23], v[202:203]              // 00000000804C: D3B140CA 18039516
	v_pk_mul_f32 v[204:205], v[22:23], v[204:205]              // 000000008054: D3B140CC 18039916
	v_pk_mul_f32 v[206:207], v[22:23], v[206:207]              // 00000000805C: D3B140CE 18039D16
	v_pk_mul_f32 v[208:209], v[22:23], v[208:209]              // 000000008064: D3B140D0 1803A116
	v_pk_mul_f32 v[210:211], v[22:23], v[210:211]              // 00000000806C: D3B140D2 1803A516
	v_pk_mul_f32 v[212:213], v[22:23], v[212:213]              // 000000008074: D3B140D4 1803A916
	v_pk_mul_f32 v[214:215], v[22:23], v[214:215]              // 00000000807C: D3B140D6 1803AD16
	v_pk_mul_f32 v[216:217], v[22:23], v[216:217]              // 000000008084: D3B140D8 1803B116
	v_pk_mul_f32 v[218:219], v[22:23], v[218:219]              // 00000000808C: D3B140DA 1803B516
	v_pk_mul_f32 v[220:221], v[22:23], v[220:221]              // 000000008094: D3B140DC 1803B916
	v_pk_mul_f32 v[222:223], v[22:23], v[222:223]              // 00000000809C: D3B140DE 1803BD16
	v_pk_mul_f32 v[224:225], v[22:23], v[224:225]              // 0000000080A4: D3B140E0 1803C116
	v_pk_mul_f32 v[226:227], v[22:23], v[226:227]              // 0000000080AC: D3B140E2 1803C516
	v_pk_mul_f32 v[228:229], v[22:23], v[228:229]              // 0000000080B4: D3B140E4 1803C916
	v_pk_mul_f32 v[230:231], v[22:23], v[230:231]              // 0000000080BC: D3B140E6 1803CD16
	v_pk_mul_f32 v[232:233], v[22:23], v[232:233]              // 0000000080C4: D3B140E8 1803D116
	v_pk_mul_f32 v[234:235], v[22:23], v[234:235]              // 0000000080CC: D3B140EA 1803D516
	v_pk_mul_f32 v[236:237], v[22:23], v[236:237]              // 0000000080D4: D3B140EC 1803D916
	v_pk_mul_f32 v[238:239], v[22:23], v[238:239]              // 0000000080DC: D3B140EE 1803DD16
	v_pk_mul_f32 v[240:241], v[22:23], v[240:241]              // 0000000080E4: D3B140F0 1803E116
	v_pk_mul_f32 v[242:243], v[22:23], v[242:243]              // 0000000080EC: D3B140F2 1803E516
	v_pk_mul_f32 v[244:245], v[22:23], v[244:245]              // 0000000080F4: D3B140F4 1803E916
	v_pk_mul_f32 v[246:247], v[22:23], v[246:247]              // 0000000080FC: D3B140F6 1803ED16
	v_pk_mul_f32 v[248:249], v[22:23], v[248:249]              // 000000008104: D3B140F8 1803F116
	v_pk_mul_f32 v[250:251], v[22:23], v[250:251]              // 00000000810C: D3B140FA 1803F516
	v_pk_mul_f32 v[252:253], v[22:23], v[252:253]              // 000000008114: D3B140FC 1803F916
	v_pk_mul_f32 v[254:255], v[22:23], v[254:255]              // 00000000811C: D3B140FE 1803FD16
	v_accvgpr_read_b32 v20, a236                               // 000000008124: D3D84014 180001EC
	v_accvgpr_read_b32 v21, a237                               // 00000000812C: D3D84015 180001ED
	v_pk_mul_f32 v[20:21], v[22:23], v[20:21]                  // 000000008134: D3B14014 18022916
	v_accvgpr_write_b32 a236, v20                              // 00000000813C: D3D940EC 18000114
	v_accvgpr_write_b32 a237, v21                              // 000000008144: D3D940ED 18000115
	v_accvgpr_read_b32 v20, a238                               // 00000000814C: D3D84014 180001EE
	v_accvgpr_read_b32 v21, a239                               // 000000008154: D3D84015 180001EF
	v_pk_mul_f32 v[20:21], v[22:23], v[20:21]                  // 00000000815C: D3B14014 18022916
	v_accvgpr_write_b32 a238, v20                              // 000000008164: D3D940EE 18000114
	v_accvgpr_write_b32 a239, v21                              // 00000000816C: D3D940EF 18000115
	v_accvgpr_read_b32 v20, a240                               // 000000008174: D3D84014 180001F0
	v_accvgpr_read_b32 v21, a241                               // 00000000817C: D3D84015 180001F1
	v_pk_mul_f32 v[20:21], v[22:23], v[20:21]                  // 000000008184: D3B14014 18022916
	v_accvgpr_write_b32 a240, v20                              // 00000000818C: D3D940F0 18000114
	v_accvgpr_write_b32 a241, v21                              // 000000008194: D3D940F1 18000115
	v_accvgpr_read_b32 v20, a242                               // 00000000819C: D3D84014 180001F2
	v_accvgpr_read_b32 v21, a243                               // 0000000081A4: D3D84015 180001F3
	v_pk_mul_f32 v[20:21], v[22:23], v[20:21]                  // 0000000081AC: D3B14014 18022916
	v_accvgpr_write_b32 a242, v20                              // 0000000081B4: D3D940F2 18000114
	v_accvgpr_write_b32 a243, v21                              // 0000000081BC: D3D940F3 18000115
	v_accvgpr_read_b32 v20, a244                               // 0000000081C4: D3D84014 180001F4
	v_accvgpr_read_b32 v21, a245                               // 0000000081CC: D3D84015 180001F5
	v_pk_mul_f32 v[20:21], v[22:23], v[20:21]                  // 0000000081D4: D3B14014 18022916
	v_accvgpr_write_b32 a244, v20                              // 0000000081DC: D3D940F4 18000114
	v_accvgpr_write_b32 a245, v21                              // 0000000081E4: D3D940F5 18000115
	v_accvgpr_read_b32 v20, a246                               // 0000000081EC: D3D84014 180001F6
	v_accvgpr_read_b32 v21, a247                               // 0000000081F4: D3D84015 180001F7
	v_pk_mul_f32 v[20:21], v[22:23], v[20:21]                  // 0000000081FC: D3B14014 18022916
	v_accvgpr_write_b32 a246, v20                              // 000000008204: D3D940F6 18000114
	v_accvgpr_write_b32 a247, v21                              // 00000000820C: D3D940F7 18000115
	v_accvgpr_read_b32 v20, a248                               // 000000008214: D3D84014 180001F8
	v_accvgpr_read_b32 v21, a249                               // 00000000821C: D3D84015 180001F9
	v_pk_mul_f32 v[20:21], v[22:23], v[20:21]                  // 000000008224: D3B14014 18022916
	v_accvgpr_write_b32 a248, v20                              // 00000000822C: D3D940F8 18000114
	v_accvgpr_write_b32 a249, v21                              // 000000008234: D3D940F9 18000115
	v_accvgpr_read_b32 v20, a250                               // 00000000823C: D3D84014 180001FA
	v_accvgpr_read_b32 v21, a251                               // 000000008244: D3D84015 180001FB
	v_pk_mul_f32 v[20:21], v[22:23], v[20:21]                  // 00000000824C: D3B14014 18022916
	v_accvgpr_write_b32 a250, v20                              // 000000008254: D3D940FA 18000114
	v_accvgpr_write_b32 a251, v21                              // 00000000825C: D3D940FB 18000115
	v_accvgpr_read_b32 v20, a252                               // 000000008264: D3D84014 180001FC
	v_accvgpr_read_b32 v21, a253                               // 00000000826C: D3D84015 180001FD
	v_pk_mul_f32 v[20:21], v[22:23], v[20:21]                  // 000000008274: D3B14014 18022916
	v_accvgpr_write_b32 a252, v20                              // 00000000827C: D3D940FC 18000114
	v_accvgpr_write_b32 a253, v21                              // 000000008284: D3D940FD 18000115
	v_accvgpr_read_b32 v20, a254                               // 00000000828C: D3D84014 180001FE
	v_accvgpr_read_b32 v21, a255                               // 000000008294: D3D84015 180001FF
	v_pk_mul_f32 v[20:21], v[22:23], v[20:21]                  // 00000000829C: D3B14014 18022916
	v_accvgpr_write_b32 a254, v20                              // 0000000082A4: D3D940FE 18000114
	v_accvgpr_write_b32 a255, v21                              // 0000000082AC: D3D940FF 18000115
	s_waitcnt vmcnt(18) lgkmcnt(0)                             // 0000000082B4: BF8C4072
	s_barrier                                                  // 0000000082B8: BF8A0000
	v_mfma_f32_16x16x16_bf16 v[148:151], a[144:145], v[36:37], v[148:151]// 0000000082BC: D3E10094 0E524990
	v_mfma_f32_16x16x16_bf16 v[152:155], a[146:147], v[36:37], v[152:155]// 0000000082C4: D3E10098 0E624992
	v_mfma_f32_16x16x16_bf16 v[156:159], a[148:149], v[36:37], v[156:159]// 0000000082CC: D3E1009C 0E724994
	v_mfma_f32_16x16x16_bf16 v[160:163], a[150:151], v[36:37], v[160:163]// 0000000082D4: D3E100A0 0E824996
	v_mfma_f32_16x16x16_bf16 v[164:167], a[152:153], v[36:37], v[164:167]// 0000000082DC: D3E100A4 0E924998
	v_mfma_f32_16x16x16_bf16 v[168:171], a[154:155], v[36:37], v[168:171]// 0000000082E4: D3E100A8 0EA2499A
	v_mfma_f32_16x16x16_bf16 v[172:175], a[156:157], v[36:37], v[172:175]// 0000000082EC: D3E100AC 0EB2499C
	v_mfma_f32_16x16x16_bf16 v[176:179], a[158:159], v[36:37], v[176:179]// 0000000082F4: D3E100B0 0EC2499E
	v_mfma_f32_16x16x16_bf16 v[180:183], a[160:161], v[36:37], v[180:183]// 0000000082FC: D3E100B4 0ED249A0
	v_mfma_f32_16x16x16_bf16 v[184:187], a[162:163], v[36:37], v[184:187]// 000000008304: D3E100B8 0EE249A2
	v_mfma_f32_16x16x16_bf16 v[188:191], a[164:165], v[36:37], v[188:191]// 00000000830C: D3E100BC 0EF249A4
	v_mfma_f32_16x16x16_bf16 v[192:195], a[166:167], v[36:37], v[192:195]// 000000008314: D3E100C0 0F0249A6
	v_mfma_f32_16x16x16_bf16 v[196:199], a[168:169], v[36:37], v[196:199]// 00000000831C: D3E100C4 0F1249A8
	v_mfma_f32_16x16x16_bf16 v[200:203], a[170:171], v[36:37], v[200:203]// 000000008324: D3E100C8 0F2249AA
	v_mfma_f32_16x16x16_bf16 v[204:207], a[172:173], v[36:37], v[204:207]// 00000000832C: D3E100CC 0F3249AC
	v_mfma_f32_16x16x16_bf16 v[208:211], a[174:175], v[36:37], v[208:211]// 000000008334: D3E100D0 0F4249AE
	v_mfma_f32_16x16x16_bf16 v[212:215], a[176:177], v[36:37], v[212:215]// 00000000833C: D3E100D4 0F5249B0
	v_mfma_f32_16x16x16_bf16 v[216:219], a[178:179], v[36:37], v[216:219]// 000000008344: D3E100D8 0F6249B2
	v_mfma_f32_16x16x16_bf16 v[220:223], a[180:181], v[36:37], v[220:223]// 00000000834C: D3E100DC 0F7249B4
	v_mfma_f32_16x16x16_bf16 v[224:227], a[182:183], v[36:37], v[224:227]// 000000008354: D3E100E0 0F8249B6
	v_mfma_f32_16x16x16_bf16 v[228:231], a[184:185], v[36:37], v[228:231]// 00000000835C: D3E100E4 0F9249B8
	v_mfma_f32_16x16x16_bf16 v[232:235], a[186:187], v[36:37], v[232:235]// 000000008364: D3E100E8 0FA249BA
	v_mfma_f32_16x16x16_bf16 v[236:239], a[188:189], v[36:37], v[236:239]// 00000000836C: D3E100EC 0FB249BC
	v_mfma_f32_16x16x16_bf16 v[240:243], a[190:191], v[36:37], v[240:243]// 000000008374: D3E100F0 0FC249BE
	v_mfma_f32_16x16x16_bf16 v[244:247], a[192:193], v[36:37], v[244:247]// 00000000837C: D3E100F4 0FD249C0
	v_mfma_f32_16x16x16_bf16 v[248:251], a[194:195], v[36:37], v[248:251]// 000000008384: D3E100F8 0FE249C2
	v_mfma_f32_16x16x16_bf16 v[252:255], a[196:197], v[36:37], v[252:255]// 00000000838C: D3E100FC 0FF249C4
	v_mfma_f32_16x16x16_bf16 a[236:239], a[198:199], v[36:37], a[236:239]// 000000008394: D3E180EC 0FB249C6
	v_mfma_f32_16x16x16_bf16 a[240:243], a[200:201], v[36:37], a[240:243]// 00000000839C: D3E180F0 0FC249C8
	v_mfma_f32_16x16x16_bf16 a[244:247], a[202:203], v[36:37], a[244:247]// 0000000083A4: D3E180F4 0FD249CA
	v_mfma_f32_16x16x16_bf16 a[248:251], a[204:205], v[36:37], a[248:251]// 0000000083AC: D3E180F8 0FE249CC
	v_mfma_f32_16x16x16_bf16 a[252:255], a[206:207], v[36:37], a[252:255]// 0000000083B4: D3E180FC 0FF249CE
	s_nop 8                                                    // 0000000083BC: BF800008
	s_branch label_2133                                        // 0000000083C0: BF820442

00000000000083c4 <label_1CF1>:
	s_waitcnt lgkmcnt(4)                                       // 0000000083C4: BF8CC47F
	v_mfma_f32_16x16x16_bf16 v[32:35], a[144:145], a[0:1], 0   // 0000000083C8: D3E10020 1A020190
	ds_read_b128 a[176:179], v4 offset:19584                   // 0000000083D0: DBFE4C80 B0000004
	ds_read_b128 a[180:183], v4 offset:19648                   // 0000000083D8: DBFE4CC0 B4000004
	v_mfma_f32_16x16x16_bf16 v[32:35], a[146:147], a[2:3], v[32:35]// 0000000083E0: D3E10020 1C820592
	v_mfma_f32_16x16x16_bf16 v[32:35], a[148:149], a[4:5], v[32:35]// 0000000083E8: D3E10020 1C820994
	v_mfma_f32_16x16x16_bf16 v[32:35], a[150:151], a[6:7], v[32:35]// 0000000083F0: D3E10020 1C820D96
	v_mfma_f32_16x16x16_bf16 v[32:35], a[152:153], a[8:9], v[32:35]// 0000000083F8: D3E10020 1C821198
	ds_read_b128 a[184:187], v4 offset:19840                   // 000000008400: DBFE4D80 B8000004
	ds_read_b128 a[188:191], v4 offset:19904                   // 000000008408: DBFE4DC0 BC000004
	v_mfma_f32_16x16x16_bf16 v[32:35], a[154:155], a[10:11], v[32:35]// 000000008410: D3E10020 1C82159A
	v_mfma_f32_16x16x16_bf16 v[32:35], a[156:157], a[12:13], v[32:35]// 000000008418: D3E10020 1C82199C
	v_mfma_f32_16x16x16_bf16 v[32:35], a[158:159], a[14:15], v[32:35]// 000000008420: D3E10020 1C821D9E
	s_waitcnt lgkmcnt(4)                                       // 000000008428: BF8CC47F
	v_mfma_f32_16x16x16_bf16 v[32:35], a[160:161], a[16:17], v[32:35]// 00000000842C: D3E10020 1C8221A0
	ds_read_b128 a[192:195], v4 offset:20096                   // 000000008434: DBFE4E80 C0000004
	ds_read_b128 a[196:199], v4 offset:20160                   // 00000000843C: DBFE4EC0 C4000004
	v_mfma_f32_16x16x16_bf16 v[32:35], a[162:163], a[18:19], v[32:35]// 000000008444: D3E10020 1C8225A2
	v_mfma_f32_16x16x16_bf16 v[32:35], a[164:165], a[20:21], v[32:35]// 00000000844C: D3E10020 1C8229A4
	v_mfma_f32_16x16x16_bf16 v[32:35], a[166:167], a[22:23], v[32:35]// 000000008454: D3E10020 1C822DA6
	v_mfma_f32_16x16x16_bf16 v[32:35], a[168:169], a[24:25], v[32:35]// 00000000845C: D3E10020 1C8231A8
	ds_read_b128 a[200:203], v4 offset:20352                   // 000000008464: DBFE4F80 C8000004
	ds_read_b128 a[204:207], v4 offset:20416                   // 00000000846C: DBFE4FC0 CC000004
	v_mfma_f32_16x16x16_bf16 v[32:35], a[170:171], a[26:27], v[32:35]// 000000008474: D3E10020 1C8235AA
	v_mfma_f32_16x16x16_bf16 v[32:35], a[172:173], a[28:29], v[32:35]// 00000000847C: D3E10020 1C8239AC
	v_mfma_f32_16x16x16_bf16 v[32:35], a[174:175], a[30:31], v[32:35]// 000000008484: D3E10020 1C823DAE
	s_waitcnt lgkmcnt(4)                                       // 00000000848C: BF8CC47F
	s_barrier                                                  // 000000008490: BF8A0000
	v_mfma_f32_16x16x16_bf16 v[32:35], a[176:177], a[32:33], v[32:35]// 000000008494: D3E10020 1C8241B0
	ds_read_b128 a[208:211], v4 offset:20608                   // 00000000849C: DBFE5080 D0000004
	ds_read_b128 a[212:215], v4 offset:20672                   // 0000000084A4: DBFE50C0 D4000004
	v_mfma_f32_16x16x16_bf16 v[32:35], a[178:179], a[34:35], v[32:35]// 0000000084AC: D3E10020 1C8245B2
	v_mfma_f32_16x16x16_bf16 v[32:35], a[180:181], a[36:37], v[32:35]// 0000000084B4: D3E10020 1C8249B4
	v_perm_b32 v28, v22, v20, s53                              // 0000000084BC: D1ED001C 00D62916
	v_perm_b32 v30, v22, v20, s52                              // 0000000084C4: D1ED001E 00D22916
	v_perm_b32 v29, v26, v24, s53                              // 0000000084CC: D1ED001D 00D6311A
	v_perm_b32 v31, v26, v24, s52                              // 0000000084D4: D1ED001F 00D2311A
	v_mfma_f32_16x16x16_bf16 v[32:35], a[182:183], a[38:39], v[32:35]// 0000000084DC: D3E10020 1C824DB6
	v_mfma_f32_16x16x16_bf16 v[32:35], a[184:185], a[40:41], v[32:35]// 0000000084E4: D3E10020 1C8251B8
	ds_write_b128 v6, v[28:31] offset:45312                    // 0000000084EC: D9BEB100 00001C06
	v_mfma_f32_16x16x16_bf16 v[32:35], a[186:187], a[42:43], v[32:35]// 0000000084F4: D3E10020 1C8255BA
	v_mfma_f32_16x16x16_bf16 v[32:35], a[188:189], a[44:45], v[32:35]// 0000000084FC: D3E10020 1C8259BC
	v_perm_b32 v28, v23, v21, s53                              // 000000008504: D1ED001C 00D62B17
	v_perm_b32 v30, v23, v21, s52                              // 00000000850C: D1ED001E 00D22B17
	v_perm_b32 v29, v27, v25, s53                              // 000000008514: D1ED001D 00D6331B
	v_perm_b32 v31, v27, v25, s52                              // 00000000851C: D1ED001F 00D2331B
	v_mfma_f32_16x16x16_bf16 v[32:35], a[190:191], a[46:47], v[32:35]// 000000008524: D3E10020 1C825DBE
	s_waitcnt lgkmcnt(1)                                       // 00000000852C: BF8CC17F
	v_mfma_f32_16x16x16_bf16 v[32:35], a[192:193], a[48:49], v[32:35]// 000000008530: D3E10020 1C8261C0
	ds_write_b128 v6, v[28:31] offset:46336                    // 000000008538: D9BEB500 00001C06
	v_mfma_f32_16x16x16_bf16 v[32:35], a[194:195], a[50:51], v[32:35]// 000000008540: D3E10020 1C8265C2
	v_mfma_f32_16x16x16_bf16 v[32:35], a[196:197], a[52:53], v[32:35]// 000000008548: D3E10020 1C8269C4
	v_mfma_f32_16x16x16_bf16 v[32:35], a[198:199], a[54:55], v[32:35]// 000000008550: D3E10020 1C826DC6
	v_mfma_f32_16x16x16_bf16 v[32:35], a[200:201], a[56:57], v[32:35]// 000000008558: D3E10020 1C8271C8
	v_mfma_f32_16x16x16_bf16 v[32:35], a[202:203], a[58:59], v[32:35]// 000000008560: D3E10020 1C8275CA
	v_mfma_f32_16x16x16_bf16 v[32:35], a[204:205], a[60:61], v[32:35]// 000000008568: D3E10020 1C8279CC
	v_mfma_f32_16x16x16_bf16 v[32:35], a[206:207], a[62:63], v[32:35]// 000000008570: D3E10020 1C827DCE
	v_mfma_f32_16x16x16_bf16 v[32:35], a[208:209], a[64:65], v[32:35]// 000000008578: D3E10020 1C8281D0
	v_mfma_f32_16x16x16_bf16 v[32:35], a[210:211], a[66:67], v[32:35]// 000000008580: D3E10020 1C8285D2
	v_mfma_f32_16x16x16_bf16 v[32:35], a[212:213], a[68:69], v[32:35]// 000000008588: D3E10020 1C8289D4
	v_mfma_f32_16x16x16_bf16 v[32:35], a[214:215], a[70:71], v[32:35]// 000000008590: D3E10020 1C828DD6
	s_cmp_le_i32 s83, s82                                      // 000000008598: BF055253
	s_cbranch_scc1 label_1D8A                                  // 00000000859C: BF850022
	v_mov_b32_e32 v25, 0xff800000                              // 0000000085A0: 7E3202FF FF800000
	v_mov_b32_e32 v24, s82                                     // 0000000085A8: 7E300252
	s_sub_u32 s56, s83, 15                                     // 0000000085AC: 80B88F53
	v_lshrrev_b32_e32 v20, 4, v0                               // 0000000085B0: 20280084
	v_mul_i32_i24_e32 v20, 4, v20                              // 0000000085B4: 0C282884
	v_add_u32_e32 v20, s56, v20                                // 0000000085B8: 68282838
	v_add_u32_e32 v21, 1, v20                                  // 0000000085BC: 682A2881
	v_add_u32_e32 v22, 2, v20                                  // 0000000085C0: 682C2882
	v_add_u32_e32 v23, 3, v20                                  // 0000000085C4: 682E2883
	v_cmp_le_u32_e64 s[38:39], v20, v24                        // 0000000085C8: D0CB0026 00023114
	v_add_u32_e32 v20, 64, v20                                 // 0000000085D0: 682828C0
	s_nop 0                                                    // 0000000085D4: BF800000
	v_cndmask_b32_e64 v32, v25, v32, s[38:39]                  // 0000000085D8: D1000020 009A4119
	v_cmp_le_u32_e64 s[38:39], v21, v24                        // 0000000085E0: D0CB0026 00023115
	v_add_u32_e32 v21, 64, v21                                 // 0000000085E8: 682A2AC0
	s_nop 0                                                    // 0000000085EC: BF800000
	v_cndmask_b32_e64 v33, v25, v33, s[38:39]                  // 0000000085F0: D1000021 009A4319
	v_cmp_le_u32_e64 s[38:39], v22, v24                        // 0000000085F8: D0CB0026 00023116
	v_add_u32_e32 v22, 64, v22                                 // 000000008600: 682C2CC0
	s_nop 0                                                    // 000000008604: BF800000
	v_cndmask_b32_e64 v34, v25, v34, s[38:39]                  // 000000008608: D1000022 009A4519
	v_cmp_le_u32_e64 s[38:39], v23, v24                        // 000000008610: D0CB0026 00023117
	v_add_u32_e32 v23, 64, v23                                 // 000000008618: 682E2EC0
	s_nop 0                                                    // 00000000861C: BF800000
	v_cndmask_b32_e64 v35, v25, v35, s[38:39]                  // 000000008620: D1000023 009A4719

0000000000008628 <label_1D8A>:
	s_waitcnt lgkmcnt(0)                                       // 000000008628: BF8CC07F
	s_barrier                                                  // 00000000862C: BF8A0000
	v_mov_b32_e32 v25, 0xff800000                              // 000000008630: 7E3202FF FF800000
	s_and_b32 s56, s48, 0xff                                   // 000000008638: 8638FF30 000000FF
	v_mov_b32_e32 v24, s56                                     // 000000008640: 7E300238
	v_lshrrev_b32_e32 v20, 4, v0                               // 000000008644: 20280084
	v_mul_i32_i24_e32 v20, 4, v20                              // 000000008648: 0C282884
	v_add_u32_e32 v21, 1, v20                                  // 00000000864C: 682A2881
	v_add_u32_e32 v22, 2, v20                                  // 000000008650: 682C2882
	v_add_u32_e32 v23, 3, v20                                  // 000000008654: 682E2883
	v_cmp_lt_u32_e64 s[38:39], v20, v24                        // 000000008658: D0C90026 00023114
	v_add_u32_e32 v20, 64, v20                                 // 000000008660: 682828C0
	s_nop 0                                                    // 000000008664: BF800000
	v_cndmask_b32_e64 v32, v25, v32, s[38:39]                  // 000000008668: D1000020 009A4119
	v_cmp_lt_u32_e64 s[38:39], v21, v24                        // 000000008670: D0C90026 00023115
	v_add_u32_e32 v21, 64, v21                                 // 000000008678: 682A2AC0
	s_nop 0                                                    // 00000000867C: BF800000
	v_cndmask_b32_e64 v33, v25, v33, s[38:39]                  // 000000008680: D1000021 009A4319
	v_cmp_lt_u32_e64 s[38:39], v22, v24                        // 000000008688: D0C90026 00023116
	v_add_u32_e32 v22, 64, v22                                 // 000000008690: 682C2CC0
	s_nop 0                                                    // 000000008694: BF800000
	v_cndmask_b32_e64 v34, v25, v34, s[38:39]                  // 000000008698: D1000022 009A4519
	v_cmp_lt_u32_e64 s[38:39], v23, v24                        // 0000000086A0: D0C90026 00023117
	v_add_u32_e32 v23, 64, v23                                 // 0000000086A8: 682E2EC0
	s_nop 0                                                    // 0000000086AC: BF800000
	v_cndmask_b32_e64 v35, v25, v35, s[38:39]                  // 0000000086B0: D1000023 009A4719
	v_mfma_f32_16x16x16_bf16 v[36:39], a[144:145], a[72:73], 0 // 0000000086B8: D3E10024 1A029190
	v_mfma_f32_16x16x16_bf16 v[36:39], a[146:147], a[74:75], v[36:39]// 0000000086C0: D3E10024 1C929592
	v_max3_f32 v24, v32, v33, v32                              // 0000000086C8: D1D30018 04824320
	v_max3_f32 v24, v34, v35, v24                              // 0000000086D0: D1D30018 04624722
	ds_write_b32 v3, v24 offset:53504                          // 0000000086D8: D81AD100 00001803
	v_mfma_f32_16x16x16_bf16 v[36:39], a[148:149], a[76:77], v[36:39]// 0000000086E0: D3E10024 1C929994
	v_mfma_f32_16x16x16_bf16 v[36:39], a[150:151], a[78:79], v[36:39]// 0000000086E8: D3E10024 1C929D96
	v_mfma_f32_16x16x16_bf16 v[36:39], a[152:153], a[80:81], v[36:39]// 0000000086F0: D3E10024 1C92A198
	v_mfma_f32_16x16x16_bf16 v[36:39], a[154:155], a[82:83], v[36:39]// 0000000086F8: D3E10024 1C92A59A
	v_mfma_f32_16x16x16_bf16 v[36:39], a[156:157], a[84:85], v[36:39]// 000000008700: D3E10024 1C92A99C
	s_waitcnt lgkmcnt(0)                                       // 000000008708: BF8CC07F
	ds_read_b32 v20, v2 offset:53504                           // 00000000870C: D86CD100 14000002
	ds_read_b32 v21, v2 offset:53568                           // 000000008714: D86CD140 15000002
	v_mfma_f32_16x16x16_bf16 v[36:39], a[158:159], a[86:87], v[36:39]// 00000000871C: D3E10024 1C92AD9E
	ds_read_b32 v22, v2 offset:53632                           // 000000008724: D86CD180 16000002
	ds_read_b32 v23, v2 offset:53696                           // 00000000872C: D86CD1C0 17000002
	v_mfma_f32_16x16x16_bf16 v[36:39], a[160:161], a[88:89], v[36:39]// 000000008734: D3E10024 1C92B1A0
	v_mfma_f32_16x16x16_bf16 v[36:39], a[162:163], a[90:91], v[36:39]// 00000000873C: D3E10024 1C92B5A2
	v_mfma_f32_16x16x16_bf16 v[36:39], a[164:165], a[92:93], v[36:39]// 000000008744: D3E10024 1C92B9A4
	v_mfma_f32_16x16x16_bf16 v[36:39], a[166:167], a[94:95], v[36:39]// 00000000874C: D3E10024 1C92BDA6
	v_mfma_f32_16x16x16_bf16 v[36:39], a[168:169], a[96:97], v[36:39]// 000000008754: D3E10024 1C92C1A8
	v_mfma_f32_16x16x16_bf16 v[36:39], a[170:171], a[98:99], v[36:39]// 00000000875C: D3E10024 1C92C5AA
	v_mfma_f32_16x16x16_bf16 v[36:39], a[172:173], a[100:101], v[36:39]// 000000008764: D3E10024 1C92C9AC
	s_waitcnt lgkmcnt(0)                                       // 00000000876C: BF8CC07F
	v_max3_f32 v24, v20, v21, v24                              // 000000008770: D1D30018 04622B14
	v_max3_f32 v24, v22, v23, v24                              // 000000008778: D1D30018 04622F16
	v_mfma_f32_16x16x16_bf16 v[36:39], a[174:175], a[102:103], v[36:39]// 000000008780: D3E10024 1C92CDAE
	v_mfma_f32_16x16x16_bf16 v[36:39], a[176:177], a[104:105], v[36:39]// 000000008788: D3E10024 1C92D1B0
	v_mfma_f32_16x16x16_bf16 v[36:39], a[178:179], a[106:107], v[36:39]// 000000008790: D3E10024 1C92D5B2
	v_mfma_f32_16x16x16_bf16 v[36:39], a[180:181], a[108:109], v[36:39]// 000000008798: D3E10024 1C92D9B4
	v_mfma_f32_16x16x16_bf16 v[36:39], a[182:183], a[110:111], v[36:39]// 0000000087A0: D3E10024 1C92DDB6
	v_mfma_f32_16x16x16_bf16 v[36:39], a[184:185], a[112:113], v[36:39]// 0000000087A8: D3E10024 1C92E1B8
	ds_read_b128 a[144:147], v7 offset:37120                   // 0000000087B0: DBFE9100 90000007
	ds_read_b128 a[148:151], v7 offset:38144                   // 0000000087B8: DBFE9500 94000007
	v_mfma_f32_16x16x16_bf16 v[36:39], a[186:187], a[114:115], v[36:39]// 0000000087C0: D3E10024 1C92E5BA
	v_mfma_f32_16x16x16_bf16 v[36:39], a[188:189], a[116:117], v[36:39]// 0000000087C8: D3E10024 1C92E9BC
	v_mfma_f32_16x16x16_bf16 v[36:39], a[190:191], a[118:119], v[36:39]// 0000000087D0: D3E10024 1C92EDBE
	v_mfma_f32_16x16x16_bf16 v[36:39], a[192:193], a[120:121], v[36:39]// 0000000087D8: D3E10024 1C92F1C0
	ds_read_b128 a[152:155], v7 offset:39168                   // 0000000087E0: DBFE9900 98000007
	ds_read_b128 a[156:159], v7 offset:40192                   // 0000000087E8: DBFE9D00 9C000007
	v_mfma_f32_16x16x16_bf16 v[36:39], a[194:195], a[122:123], v[36:39]// 0000000087F0: D3E10024 1C92F5C2
	v_mfma_f32_16x16x16_bf16 v[36:39], a[196:197], a[124:125], v[36:39]// 0000000087F8: D3E10024 1C92F9C4
	v_mfma_f32_16x16x16_bf16 v[36:39], a[198:199], a[126:127], v[36:39]// 000000008800: D3E10024 1C92FDC6
	v_mfma_f32_16x16x16_bf16 v[36:39], a[200:201], a[128:129], v[36:39]// 000000008808: D3E10024 1C9301C8
	ds_read_b128 a[160:163], v7 offset:41216                   // 000000008810: DBFEA100 A0000007
	ds_read_b128 a[164:167], v7 offset:42240                   // 000000008818: DBFEA500 A4000007
	v_mfma_f32_16x16x16_bf16 v[36:39], a[202:203], a[130:131], v[36:39]// 000000008820: D3E10024 1C9305CA
	v_mfma_f32_16x16x16_bf16 v[36:39], a[204:205], a[132:133], v[36:39]// 000000008828: D3E10024 1C9309CC
	v_mfma_f32_16x16x16_bf16 v[36:39], a[206:207], a[134:135], v[36:39]// 000000008830: D3E10024 1C930DCE
	v_mfma_f32_16x16x16_bf16 v[36:39], a[208:209], a[136:137], v[36:39]// 000000008838: D3E10024 1C9311D0
	ds_read_b128 a[168:171], v7 offset:43264                   // 000000008840: DBFEA900 A8000007
	ds_read_b128 a[172:175], v7 offset:44288                   // 000000008848: DBFEAD00 AC000007
	v_mfma_f32_16x16x16_bf16 v[36:39], a[210:211], a[138:139], v[36:39]// 000000008850: D3E10024 1C9315D2
	v_mfma_f32_16x16x16_bf16 v[36:39], a[212:213], a[140:141], v[36:39]// 000000008858: D3E10024 1C9319D4
	v_mfma_f32_16x16x16_bf16 v[36:39], a[214:215], a[142:143], v[36:39]// 000000008860: D3E10024 1C931DD6
	v_mov_b32_e32 v25, 0xff7fffff                              // 000000008868: 7E3202FF FF7FFFFF
	v_cmp_eq_u32_e64 s[38:39], v25, v12                        // 000000008870: D0CA0026 00021919
	v_max_f32_e32 v20, v24, v12                                // 000000008878: 16281918
	v_sub_f32_e32 v16, v12, v20                                // 00000000887C: 0420290C
	v_cndmask_b32_e64 v16, v16, 0, s[38:39]                    // 000000008880: D1000010 00990110
	v_mov_b32_e32 v12, v20                                     // 000000008888: 7E180314
	v_mul_f32_e32 v21, s5, v20                                 // 00000000888C: 0A2A2805
	v_mul_f32_e32 v16, s5, v16                                 // 000000008890: 0A202005
	v_exp_f32_e32 v16, v16                                     // 000000008894: 7E204110
	v_fma_f32 v32, v32, s5, -v21                               // 000000008898: D1CB0020 84540B20
	v_fma_f32 v33, v33, s5, -v21                               // 0000000088A0: D1CB0021 84540B21
	v_fma_f32 v34, v34, s5, -v21                               // 0000000088A8: D1CB0022 84540B22
	v_fma_f32 v35, v35, s5, -v21                               // 0000000088B0: D1CB0023 84540B23
	v_exp_f32_e32 v32, v32                                     // 0000000088B8: 7E404120
	v_exp_f32_e32 v33, v33                                     // 0000000088BC: 7E424121
	v_exp_f32_e32 v34, v34                                     // 0000000088C0: 7E444122
	v_exp_f32_e32 v35, v35                                     // 0000000088C4: 7E464123
	v_mul_f32_e32 v14, v16, v14                                // 0000000088C8: 0A1C1D10
	v_mov_b32_e32 v22, v32                                     // 0000000088CC: 7E2C0320
	v_add_f32_e32 v22, v33, v22                                // 0000000088D0: 022C2D21
	v_add_f32_e32 v22, v34, v22                                // 0000000088D4: 022C2D22
	v_add_f32_e32 v22, v35, v22                                // 0000000088D8: 022C2D23
	v_add_f32_e32 v14, v22, v14                                // 0000000088DC: 021C1D16
	v_mov_b32_e32 v29, 0xffff0000                              // 0000000088E0: 7E3A02FF FFFF0000
	v_mov_b32_e32 v30, 0x7fff0000                              // 0000000088E8: 7E3C02FF 7FFF0000
	v_mov_b32_e32 v31, 0x7fff                                  // 0000000088F0: 7E3E02FF 00007FFF
	v_cmp_u_f32_e64 s[38:39], v32, v32                         // 0000000088F8: D0480026 00024120
	v_add3_u32 v28, v32, v31, 1                                // 000000008900: D1FF001C 02063F20
	v_cndmask_b32_e64 v20, v28, v30, s[38:39]                  // 000000008908: D1000014 009A3D1C
	v_cmp_u_f32_e64 s[38:39], v33, v33                         // 000000008910: D0480026 00024321
	v_add3_u32 v28, v33, v31, 1                                // 000000008918: D1FF001C 02063F21
	v_cndmask_b32_e64 v21, v28, v30, s[38:39]                  // 000000008920: D1000015 009A3D1C
	v_perm_b32 v32, v21, v20, s52                              // 000000008928: D1ED0020 00D22915
	v_cmp_u_f32_e64 s[38:39], v34, v34                         // 000000008930: D0480026 00024522
	v_add3_u32 v28, v34, v31, 1                                // 000000008938: D1FF001C 02063F22
	v_cndmask_b32_e64 v20, v28, v30, s[38:39]                  // 000000008940: D1000014 009A3D1C
	v_cmp_u_f32_e64 s[38:39], v35, v35                         // 000000008948: D0480026 00024723
	v_add3_u32 v28, v35, v31, 1                                // 000000008950: D1FF001C 02063F23
	v_cndmask_b32_e64 v21, v28, v30, s[38:39]                  // 000000008958: D1000015 009A3D1C
	v_perm_b32 v33, v21, v20, s52                              // 000000008960: D1ED0021 00D22915
	s_nop 2                                                    // 000000008968: BF800002
	s_cmp_le_i32 s83, s82                                      // 00000000896C: BF055253
	s_cbranch_scc1 label_1E7F                                  // 000000008970: BF850022
	v_mov_b32_e32 v25, 0xff800000                              // 000000008974: 7E3202FF FF800000
	v_mov_b32_e32 v24, s82                                     // 00000000897C: 7E300252
	s_sub_u32 s56, s83, 15                                     // 000000008980: 80B88F53
	v_lshrrev_b32_e32 v20, 4, v0                               // 000000008984: 20280084
	v_mul_i32_i24_e32 v20, 4, v20                              // 000000008988: 0C282884
	v_add_u32_e32 v20, s56, v20                                // 00000000898C: 68282838
	v_add_u32_e32 v21, 1, v20                                  // 000000008990: 682A2881
	v_add_u32_e32 v22, 2, v20                                  // 000000008994: 682C2882
	v_add_u32_e32 v23, 3, v20                                  // 000000008998: 682E2883
	v_cmp_le_u32_e64 s[38:39], v20, v24                        // 00000000899C: D0CB0026 00023114
	v_add_u32_e32 v20, 64, v20                                 // 0000000089A4: 682828C0
	s_nop 0                                                    // 0000000089A8: BF800000
	v_cndmask_b32_e64 v36, v25, v36, s[38:39]                  // 0000000089AC: D1000024 009A4919
	v_cmp_le_u32_e64 s[38:39], v21, v24                        // 0000000089B4: D0CB0026 00023115
	v_add_u32_e32 v21, 64, v21                                 // 0000000089BC: 682A2AC0
	s_nop 0                                                    // 0000000089C0: BF800000
	v_cndmask_b32_e64 v37, v25, v37, s[38:39]                  // 0000000089C4: D1000025 009A4B19
	v_cmp_le_u32_e64 s[38:39], v22, v24                        // 0000000089CC: D0CB0026 00023116
	v_add_u32_e32 v22, 64, v22                                 // 0000000089D4: 682C2CC0
	s_nop 0                                                    // 0000000089D8: BF800000
	v_cndmask_b32_e64 v38, v25, v38, s[38:39]                  // 0000000089DC: D1000026 009A4D19
	v_cmp_le_u32_e64 s[38:39], v23, v24                        // 0000000089E4: D0CB0026 00023117
	v_add_u32_e32 v23, 64, v23                                 // 0000000089EC: 682E2EC0
	s_nop 0                                                    // 0000000089F0: BF800000
	v_cndmask_b32_e64 v39, v25, v39, s[38:39]                  // 0000000089F4: D1000027 009A4F19

00000000000089fc <label_1E7F>:
	s_add_u32 s83, s84, s83                                    // 0000000089FC: 80535354
	s_nop 0                                                    // 000000008A00: BF800000
	v_mov_b32_e32 v22, v16                                     // 000000008A04: 7E2C0310
	v_mov_b32_e32 v23, v16                                     // 000000008A08: 7E2E0310
	v_pk_mul_f32 v[40:41], v[22:23], v[40:41]                  // 000000008A0C: D3B14028 18025116
	v_pk_mul_f32 v[42:43], v[22:23], v[42:43]                  // 000000008A14: D3B1402A 18025516
	v_pk_mul_f32 v[44:45], v[22:23], v[44:45]                  // 000000008A1C: D3B1402C 18025916
	v_pk_mul_f32 v[46:47], v[22:23], v[46:47]                  // 000000008A24: D3B1402E 18025D16
	v_pk_mul_f32 v[48:49], v[22:23], v[48:49]                  // 000000008A2C: D3B14030 18026116
	v_pk_mul_f32 v[50:51], v[22:23], v[50:51]                  // 000000008A34: D3B14032 18026516
	v_pk_mul_f32 v[52:53], v[22:23], v[52:53]                  // 000000008A3C: D3B14034 18026916
	v_pk_mul_f32 v[54:55], v[22:23], v[54:55]                  // 000000008A44: D3B14036 18026D16
	v_pk_mul_f32 v[56:57], v[22:23], v[56:57]                  // 000000008A4C: D3B14038 18027116
	v_pk_mul_f32 v[58:59], v[22:23], v[58:59]                  // 000000008A54: D3B1403A 18027516
	v_pk_mul_f32 v[60:61], v[22:23], v[60:61]                  // 000000008A5C: D3B1403C 18027916
	v_pk_mul_f32 v[62:63], v[22:23], v[62:63]                  // 000000008A64: D3B1403E 18027D16
	v_pk_mul_f32 v[64:65], v[22:23], v[64:65]                  // 000000008A6C: D3B14040 18028116
	v_pk_mul_f32 v[66:67], v[22:23], v[66:67]                  // 000000008A74: D3B14042 18028516
	v_pk_mul_f32 v[68:69], v[22:23], v[68:69]                  // 000000008A7C: D3B14044 18028916
	v_pk_mul_f32 v[70:71], v[22:23], v[70:71]                  // 000000008A84: D3B14046 18028D16
	v_pk_mul_f32 v[72:73], v[22:23], v[72:73]                  // 000000008A8C: D3B14048 18029116
	v_pk_mul_f32 v[74:75], v[22:23], v[74:75]                  // 000000008A94: D3B1404A 18029516
	v_pk_mul_f32 v[76:77], v[22:23], v[76:77]                  // 000000008A9C: D3B1404C 18029916
	v_pk_mul_f32 v[78:79], v[22:23], v[78:79]                  // 000000008AA4: D3B1404E 18029D16
	v_pk_mul_f32 v[80:81], v[22:23], v[80:81]                  // 000000008AAC: D3B14050 1802A116
	v_pk_mul_f32 v[82:83], v[22:23], v[82:83]                  // 000000008AB4: D3B14052 1802A516
	v_pk_mul_f32 v[84:85], v[22:23], v[84:85]                  // 000000008ABC: D3B14054 1802A916
	v_pk_mul_f32 v[86:87], v[22:23], v[86:87]                  // 000000008AC4: D3B14056 1802AD16
	v_pk_mul_f32 v[88:89], v[22:23], v[88:89]                  // 000000008ACC: D3B14058 1802B116
	v_pk_mul_f32 v[90:91], v[22:23], v[90:91]                  // 000000008AD4: D3B1405A 1802B516
	v_pk_mul_f32 v[92:93], v[22:23], v[92:93]                  // 000000008ADC: D3B1405C 1802B916
	v_pk_mul_f32 v[94:95], v[22:23], v[94:95]                  // 000000008AE4: D3B1405E 1802BD16
	v_pk_mul_f32 v[96:97], v[22:23], v[96:97]                  // 000000008AEC: D3B14060 1802C116
	v_pk_mul_f32 v[98:99], v[22:23], v[98:99]                  // 000000008AF4: D3B14062 1802C516
	v_pk_mul_f32 v[100:101], v[22:23], v[100:101]              // 000000008AFC: D3B14064 1802C916
	v_pk_mul_f32 v[102:103], v[22:23], v[102:103]              // 000000008B04: D3B14066 1802CD16
	v_pk_mul_f32 v[104:105], v[22:23], v[104:105]              // 000000008B0C: D3B14068 1802D116
	v_pk_mul_f32 v[106:107], v[22:23], v[106:107]              // 000000008B14: D3B1406A 1802D516
	v_pk_mul_f32 v[108:109], v[22:23], v[108:109]              // 000000008B1C: D3B1406C 1802D916
	v_pk_mul_f32 v[110:111], v[22:23], v[110:111]              // 000000008B24: D3B1406E 1802DD16
	v_pk_mul_f32 v[112:113], v[22:23], v[112:113]              // 000000008B2C: D3B14070 1802E116
	v_pk_mul_f32 v[114:115], v[22:23], v[114:115]              // 000000008B34: D3B14072 1802E516
	v_pk_mul_f32 v[116:117], v[22:23], v[116:117]              // 000000008B3C: D3B14074 1802E916
	v_pk_mul_f32 v[118:119], v[22:23], v[118:119]              // 000000008B44: D3B14076 1802ED16
	v_pk_mul_f32 v[120:121], v[22:23], v[120:121]              // 000000008B4C: D3B14078 1802F116
	v_pk_mul_f32 v[122:123], v[22:23], v[122:123]              // 000000008B54: D3B1407A 1802F516
	v_pk_mul_f32 v[124:125], v[22:23], v[124:125]              // 000000008B5C: D3B1407C 1802F916
	v_pk_mul_f32 v[126:127], v[22:23], v[126:127]              // 000000008B64: D3B1407E 1802FD16
	v_pk_mul_f32 v[128:129], v[22:23], v[128:129]              // 000000008B6C: D3B14080 18030116
	v_pk_mul_f32 v[130:131], v[22:23], v[130:131]              // 000000008B74: D3B14082 18030516
	v_pk_mul_f32 v[132:133], v[22:23], v[132:133]              // 000000008B7C: D3B14084 18030916
	v_pk_mul_f32 v[134:135], v[22:23], v[134:135]              // 000000008B84: D3B14086 18030D16
	v_pk_mul_f32 v[136:137], v[22:23], v[136:137]              // 000000008B8C: D3B14088 18031116
	v_pk_mul_f32 v[138:139], v[22:23], v[138:139]              // 000000008B94: D3B1408A 18031516
	v_pk_mul_f32 v[140:141], v[22:23], v[140:141]              // 000000008B9C: D3B1408C 18031916
	v_pk_mul_f32 v[142:143], v[22:23], v[142:143]              // 000000008BA4: D3B1408E 18031D16
	v_pk_mul_f32 v[144:145], v[22:23], v[144:145]              // 000000008BAC: D3B14090 18032116
	v_pk_mul_f32 v[146:147], v[22:23], v[146:147]              // 000000008BB4: D3B14092 18032516
	v_accvgpr_read_b32 v20, a216                               // 000000008BBC: D3D84014 180001D8
	v_accvgpr_read_b32 v21, a217                               // 000000008BC4: D3D84015 180001D9
	v_pk_mul_f32 v[20:21], v[22:23], v[20:21]                  // 000000008BCC: D3B14014 18022916
	v_accvgpr_write_b32 a216, v20                              // 000000008BD4: D3D940D8 18000114
	v_accvgpr_write_b32 a217, v21                              // 000000008BDC: D3D940D9 18000115
	v_accvgpr_read_b32 v20, a218                               // 000000008BE4: D3D84014 180001DA
	v_accvgpr_read_b32 v21, a219                               // 000000008BEC: D3D84015 180001DB
	v_pk_mul_f32 v[20:21], v[22:23], v[20:21]                  // 000000008BF4: D3B14014 18022916
	v_accvgpr_write_b32 a218, v20                              // 000000008BFC: D3D940DA 18000114
	v_accvgpr_write_b32 a219, v21                              // 000000008C04: D3D940DB 18000115
	v_accvgpr_read_b32 v20, a220                               // 000000008C0C: D3D84014 180001DC
	v_accvgpr_read_b32 v21, a221                               // 000000008C14: D3D84015 180001DD
	v_pk_mul_f32 v[20:21], v[22:23], v[20:21]                  // 000000008C1C: D3B14014 18022916
	v_accvgpr_write_b32 a220, v20                              // 000000008C24: D3D940DC 18000114
	v_accvgpr_write_b32 a221, v21                              // 000000008C2C: D3D940DD 18000115
	v_accvgpr_read_b32 v20, a222                               // 000000008C34: D3D84014 180001DE
	v_accvgpr_read_b32 v21, a223                               // 000000008C3C: D3D84015 180001DF
	v_pk_mul_f32 v[20:21], v[22:23], v[20:21]                  // 000000008C44: D3B14014 18022916
	v_accvgpr_write_b32 a222, v20                              // 000000008C4C: D3D940DE 18000114
	v_accvgpr_write_b32 a223, v21                              // 000000008C54: D3D940DF 18000115
	v_accvgpr_read_b32 v20, a224                               // 000000008C5C: D3D84014 180001E0
	v_accvgpr_read_b32 v21, a225                               // 000000008C64: D3D84015 180001E1
	v_pk_mul_f32 v[20:21], v[22:23], v[20:21]                  // 000000008C6C: D3B14014 18022916
	v_accvgpr_write_b32 a224, v20                              // 000000008C74: D3D940E0 18000114
	v_accvgpr_write_b32 a225, v21                              // 000000008C7C: D3D940E1 18000115
	v_accvgpr_read_b32 v20, a226                               // 000000008C84: D3D84014 180001E2
	v_accvgpr_read_b32 v21, a227                               // 000000008C8C: D3D84015 180001E3
	v_pk_mul_f32 v[20:21], v[22:23], v[20:21]                  // 000000008C94: D3B14014 18022916
	v_accvgpr_write_b32 a226, v20                              // 000000008C9C: D3D940E2 18000114
	v_accvgpr_write_b32 a227, v21                              // 000000008CA4: D3D940E3 18000115
	v_accvgpr_read_b32 v20, a228                               // 000000008CAC: D3D84014 180001E4
	v_accvgpr_read_b32 v21, a229                               // 000000008CB4: D3D84015 180001E5
	v_pk_mul_f32 v[20:21], v[22:23], v[20:21]                  // 000000008CBC: D3B14014 18022916
	v_accvgpr_write_b32 a228, v20                              // 000000008CC4: D3D940E4 18000114
	v_accvgpr_write_b32 a229, v21                              // 000000008CCC: D3D940E5 18000115
	v_accvgpr_read_b32 v20, a230                               // 000000008CD4: D3D84014 180001E6
	v_accvgpr_read_b32 v21, a231                               // 000000008CDC: D3D84015 180001E7
	v_pk_mul_f32 v[20:21], v[22:23], v[20:21]                  // 000000008CE4: D3B14014 18022916
	v_accvgpr_write_b32 a230, v20                              // 000000008CEC: D3D940E6 18000114
	v_accvgpr_write_b32 a231, v21                              // 000000008CF4: D3D940E7 18000115
	v_accvgpr_read_b32 v20, a232                               // 000000008CFC: D3D84014 180001E8
	v_accvgpr_read_b32 v21, a233                               // 000000008D04: D3D84015 180001E9
	v_pk_mul_f32 v[20:21], v[22:23], v[20:21]                  // 000000008D0C: D3B14014 18022916
	v_accvgpr_write_b32 a232, v20                              // 000000008D14: D3D940E8 18000114
	v_accvgpr_write_b32 a233, v21                              // 000000008D1C: D3D940E9 18000115
	v_accvgpr_read_b32 v20, a234                               // 000000008D24: D3D84014 180001EA
	v_accvgpr_read_b32 v21, a235                               // 000000008D2C: D3D84015 180001EB
	v_pk_mul_f32 v[20:21], v[22:23], v[20:21]                  // 000000008D34: D3B14014 18022916
	v_accvgpr_write_b32 a234, v20                              // 000000008D3C: D3D940EA 18000114
	v_accvgpr_write_b32 a235, v21                              // 000000008D44: D3D940EB 18000115
	s_waitcnt lgkmcnt(0)                                       // 000000008D4C: BF8CC07F
	v_mov_b32_e32 v25, 0xff800000                              // 000000008D50: 7E3202FF FF800000
	s_and_b32 s56, s48, 0xff                                   // 000000008D58: 8638FF30 000000FF
	v_mov_b32_e32 v24, s56                                     // 000000008D60: 7E300238
	v_lshrrev_b32_e32 v20, 4, v0                               // 000000008D64: 20280084
	v_mul_i32_i24_e32 v20, 4, v20                              // 000000008D68: 0C282884
	v_add_u32_e32 v21, 1, v20                                  // 000000008D6C: 682A2881
	v_add_u32_e32 v22, 2, v20                                  // 000000008D70: 682C2882
	v_add_u32_e32 v23, 3, v20                                  // 000000008D74: 682E2883
	v_cmp_lt_u32_e64 s[38:39], v20, v24                        // 000000008D78: D0C90026 00023114
	v_add_u32_e32 v20, 64, v20                                 // 000000008D80: 682828C0
	s_nop 0                                                    // 000000008D84: BF800000
	v_cndmask_b32_e64 v36, v25, v36, s[38:39]                  // 000000008D88: D1000024 009A4919
	v_cmp_lt_u32_e64 s[38:39], v21, v24                        // 000000008D90: D0C90026 00023115
	v_add_u32_e32 v21, 64, v21                                 // 000000008D98: 682A2AC0
	s_nop 0                                                    // 000000008D9C: BF800000
	v_cndmask_b32_e64 v37, v25, v37, s[38:39]                  // 000000008DA0: D1000025 009A4B19
	v_cmp_lt_u32_e64 s[38:39], v22, v24                        // 000000008DA8: D0C90026 00023116
	v_add_u32_e32 v22, 64, v22                                 // 000000008DB0: 682C2CC0
	s_nop 0                                                    // 000000008DB4: BF800000
	v_cndmask_b32_e64 v38, v25, v38, s[38:39]                  // 000000008DB8: D1000026 009A4D19
	v_cmp_lt_u32_e64 s[38:39], v23, v24                        // 000000008DC0: D0C90026 00023117
	v_add_u32_e32 v23, 64, v23                                 // 000000008DC8: 682E2EC0
	s_nop 0                                                    // 000000008DCC: BF800000
	v_cndmask_b32_e64 v39, v25, v39, s[38:39]                  // 000000008DD0: D1000027 009A4F19
	v_mfma_f32_16x16x16_bf16 v[40:43], a[144:145], v[32:33], v[40:43]// 000000008DD8: D3E10028 0CA24190
	ds_read_b128 a[176:179], v7 offset:45312                   // 000000008DE0: DBFEB100 B0000007
	ds_read_b128 a[180:183], v7 offset:46336                   // 000000008DE8: DBFEB500 B4000007
	v_mfma_f32_16x16x16_bf16 v[44:47], a[146:147], v[32:33], v[44:47]// 000000008DF0: D3E1002C 0CB24192
	v_mfma_f32_16x16x16_bf16 v[48:51], a[148:149], v[32:33], v[48:51]// 000000008DF8: D3E10030 0CC24194
	v_mfma_f32_16x16x16_bf16 v[52:55], a[150:151], v[32:33], v[52:55]// 000000008E00: D3E10034 0CD24196
	v_mfma_f32_16x16x16_bf16 v[56:59], a[152:153], v[32:33], v[56:59]// 000000008E08: D3E10038 0CE24198
	ds_read_b128 a[184:187], v7 offset:47360                   // 000000008E10: DBFEB900 B8000007
	ds_read_b128 a[188:191], v7 offset:48384                   // 000000008E18: DBFEBD00 BC000007
	v_mfma_f32_16x16x16_bf16 v[60:63], a[154:155], v[32:33], v[60:63]// 000000008E20: D3E1003C 0CF2419A
	v_mfma_f32_16x16x16_bf16 v[64:67], a[156:157], v[32:33], v[64:67]// 000000008E28: D3E10040 0D02419C
	v_mfma_f32_16x16x16_bf16 v[68:71], a[158:159], v[32:33], v[68:71]// 000000008E30: D3E10044 0D12419E
	v_mfma_f32_16x16x16_bf16 v[72:75], a[160:161], v[32:33], v[72:75]// 000000008E38: D3E10048 0D2241A0
	ds_read_b128 a[192:195], v7 offset:49408                   // 000000008E40: DBFEC100 C0000007
	ds_read_b128 a[196:199], v7 offset:50432                   // 000000008E48: DBFEC500 C4000007
	v_mfma_f32_16x16x16_bf16 v[76:79], a[162:163], v[32:33], v[76:79]// 000000008E50: D3E1004C 0D3241A2
	v_mfma_f32_16x16x16_bf16 v[80:83], a[164:165], v[32:33], v[80:83]// 000000008E58: D3E10050 0D4241A4
	v_mfma_f32_16x16x16_bf16 v[84:87], a[166:167], v[32:33], v[84:87]// 000000008E60: D3E10054 0D5241A6
	v_mfma_f32_16x16x16_bf16 v[88:91], a[168:169], v[32:33], v[88:91]// 000000008E68: D3E10058 0D6241A8
	ds_read_b128 a[200:203], v7 offset:51456                   // 000000008E70: DBFEC900 C8000007
	ds_read_b128 a[204:207], v7 offset:52480                   // 000000008E78: DBFECD00 CC000007
	v_mfma_f32_16x16x16_bf16 v[92:95], a[170:171], v[32:33], v[92:95]// 000000008E80: D3E1005C 0D7241AA
	v_mfma_f32_16x16x16_bf16 v[96:99], a[172:173], v[32:33], v[96:99]// 000000008E88: D3E10060 0D8241AC
	v_mfma_f32_16x16x16_bf16 v[100:103], a[174:175], v[32:33], v[100:103]// 000000008E90: D3E10064 0D9241AE
	s_waitcnt lgkmcnt(4)                                       // 000000008E98: BF8CC47F
	v_mfma_f32_16x16x16_bf16 v[104:107], a[176:177], v[32:33], v[104:107]// 000000008E9C: D3E10068 0DA241B0
	v_max3_f32 v24, v36, v37, v36                              // 000000008EA4: D1D30018 04924B24
	v_max3_f32 v24, v38, v39, v24                              // 000000008EAC: D1D30018 04624F26
	ds_write_b32 v3, v24 offset:54528                          // 000000008EB4: D81AD500 00001803
	v_mfma_f32_16x16x16_bf16 v[108:111], a[178:179], v[32:33], v[108:111]// 000000008EBC: D3E1006C 0DB241B2
	v_mfma_f32_16x16x16_bf16 v[112:115], a[180:181], v[32:33], v[112:115]// 000000008EC4: D3E10070 0DC241B4
	v_mfma_f32_16x16x16_bf16 v[116:119], a[182:183], v[32:33], v[116:119]// 000000008ECC: D3E10074 0DD241B6
	v_mfma_f32_16x16x16_bf16 v[120:123], a[184:185], v[32:33], v[120:123]// 000000008ED4: D3E10078 0DE241B8
	v_mfma_f32_16x16x16_bf16 v[124:127], a[186:187], v[32:33], v[124:127]// 000000008EDC: D3E1007C 0DF241BA
	v_mfma_f32_16x16x16_bf16 v[128:131], a[188:189], v[32:33], v[128:131]// 000000008EE4: D3E10080 0E0241BC
	v_mfma_f32_16x16x16_bf16 v[132:135], a[190:191], v[32:33], v[132:135]// 000000008EEC: D3E10084 0E1241BE
	s_waitcnt lgkmcnt(0)                                       // 000000008EF4: BF8CC07F
	v_mfma_f32_16x16x16_bf16 v[136:139], a[192:193], v[32:33], v[136:139]// 000000008EF8: D3E10088 0E2241C0
	s_waitcnt lgkmcnt(0)                                       // 000000008F00: BF8CC07F
	ds_read_b32 v20, v2 offset:54528                           // 000000008F04: D86CD500 14000002
	ds_read_b32 v21, v2 offset:54592                           // 000000008F0C: D86CD540 15000002
	v_mfma_f32_16x16x16_bf16 v[140:143], a[194:195], v[32:33], v[140:143]// 000000008F14: D3E1008C 0E3241C2
	ds_read_b32 v22, v2 offset:54656                           // 000000008F1C: D86CD580 16000002
	ds_read_b32 v23, v2 offset:54720                           // 000000008F24: D86CD5C0 17000002
	v_mfma_f32_16x16x16_bf16 v[144:147], a[196:197], v[32:33], v[144:147]// 000000008F2C: D3E10090 0E4241C4
	v_mfma_f32_16x16x16_bf16 a[216:219], a[198:199], v[32:33], a[216:219]// 000000008F34: D3E180D8 0F6241C6
	v_mfma_f32_16x16x16_bf16 a[220:223], a[200:201], v[32:33], a[220:223]// 000000008F3C: D3E180DC 0F7241C8
	v_mfma_f32_16x16x16_bf16 a[224:227], a[202:203], v[32:33], a[224:227]// 000000008F44: D3E180E0 0F8241CA
	v_mfma_f32_16x16x16_bf16 a[228:231], a[204:205], v[32:33], a[228:231]// 000000008F4C: D3E180E4 0F9241CC
	v_mfma_f32_16x16x16_bf16 a[232:235], a[206:207], v[32:33], a[232:235]// 000000008F54: D3E180E8 0FA241CE
	s_waitcnt lgkmcnt(0)                                       // 000000008F5C: BF8CC07F
	v_max3_f32 v24, v20, v21, v24                              // 000000008F60: D1D30018 04622B14
	v_max3_f32 v24, v22, v23, v24                              // 000000008F68: D1D30018 04622F16
	v_mov_b32_e32 v25, 0xff7fffff                              // 000000008F70: 7E3202FF FF7FFFFF
	v_cmp_eq_u32_e64 s[38:39], v25, v13                        // 000000008F78: D0CA0026 00021B19
	v_max_f32_e32 v20, v24, v13                                // 000000008F80: 16281B18
	v_sub_f32_e32 v17, v13, v20                                // 000000008F84: 0422290D
	v_cndmask_b32_e64 v17, v17, 0, s[38:39]                    // 000000008F88: D1000011 00990111
	v_mov_b32_e32 v13, v20                                     // 000000008F90: 7E1A0314
	v_mul_f32_e32 v21, s5, v20                                 // 000000008F94: 0A2A2805
	v_mul_f32_e32 v17, s5, v17                                 // 000000008F98: 0A222205
	v_exp_f32_e32 v17, v17                                     // 000000008F9C: 7E224111
	v_fma_f32 v36, v36, s5, -v21                               // 000000008FA0: D1CB0024 84540B24
	v_fma_f32 v37, v37, s5, -v21                               // 000000008FA8: D1CB0025 84540B25
	v_fma_f32 v38, v38, s5, -v21                               // 000000008FB0: D1CB0026 84540B26
	v_fma_f32 v39, v39, s5, -v21                               // 000000008FB8: D1CB0027 84540B27
	v_exp_f32_e32 v36, v36                                     // 000000008FC0: 7E484124
	v_exp_f32_e32 v37, v37                                     // 000000008FC4: 7E4A4125
	v_exp_f32_e32 v38, v38                                     // 000000008FC8: 7E4C4126
	v_exp_f32_e32 v39, v39                                     // 000000008FCC: 7E4E4127
	v_mul_f32_e32 v15, v17, v15                                // 000000008FD0: 0A1E1F11
	v_mov_b32_e32 v22, v36                                     // 000000008FD4: 7E2C0324
	v_add_f32_e32 v22, v37, v22                                // 000000008FD8: 022C2D25
	v_add_f32_e32 v22, v38, v22                                // 000000008FDC: 022C2D26
	v_add_f32_e32 v22, v39, v22                                // 000000008FE0: 022C2D27
	v_add_f32_e32 v15, v22, v15                                // 000000008FE4: 021E1F16
	v_mov_b32_e32 v29, 0xffff0000                              // 000000008FE8: 7E3A02FF FFFF0000
	v_mov_b32_e32 v30, 0x7fff0000                              // 000000008FF0: 7E3C02FF 7FFF0000
	v_mov_b32_e32 v31, 0x7fff                                  // 000000008FF8: 7E3E02FF 00007FFF
	v_cmp_u_f32_e64 s[38:39], v36, v36                         // 000000009000: D0480026 00024924
	v_add3_u32 v28, v36, v31, 1                                // 000000009008: D1FF001C 02063F24
	v_cndmask_b32_e64 v20, v28, v30, s[38:39]                  // 000000009010: D1000014 009A3D1C
	v_cmp_u_f32_e64 s[38:39], v37, v37                         // 000000009018: D0480026 00024B25
	v_add3_u32 v28, v37, v31, 1                                // 000000009020: D1FF001C 02063F25
	v_cndmask_b32_e64 v21, v28, v30, s[38:39]                  // 000000009028: D1000015 009A3D1C
	v_perm_b32 v36, v21, v20, s52                              // 000000009030: D1ED0024 00D22915
	v_cmp_u_f32_e64 s[38:39], v38, v38                         // 000000009038: D0480026 00024D26
	v_add3_u32 v28, v38, v31, 1                                // 000000009040: D1FF001C 02063F26
	v_cndmask_b32_e64 v20, v28, v30, s[38:39]                  // 000000009048: D1000014 009A3D1C
	v_cmp_u_f32_e64 s[38:39], v39, v39                         // 000000009050: D0480026 00024F27
	v_add3_u32 v28, v39, v31, 1                                // 000000009058: D1FF001C 02063F27
	v_cndmask_b32_e64 v21, v28, v30, s[38:39]                  // 000000009060: D1000015 009A3D1C
	v_perm_b32 v37, v21, v20, s52                              // 000000009068: D1ED0025 00D22915
	s_nop 2                                                    // 000000009070: BF800002
	v_mov_b32_e32 v22, v17                                     // 000000009074: 7E2C0311
	v_mov_b32_e32 v23, v17                                     // 000000009078: 7E2E0311
	v_pk_mul_f32 v[148:149], v[22:23], v[148:149]              // 00000000907C: D3B14094 18032916
	v_pk_mul_f32 v[150:151], v[22:23], v[150:151]              // 000000009084: D3B14096 18032D16
	v_pk_mul_f32 v[152:153], v[22:23], v[152:153]              // 00000000908C: D3B14098 18033116
	v_pk_mul_f32 v[154:155], v[22:23], v[154:155]              // 000000009094: D3B1409A 18033516
	v_pk_mul_f32 v[156:157], v[22:23], v[156:157]              // 00000000909C: D3B1409C 18033916
	v_pk_mul_f32 v[158:159], v[22:23], v[158:159]              // 0000000090A4: D3B1409E 18033D16
	v_pk_mul_f32 v[160:161], v[22:23], v[160:161]              // 0000000090AC: D3B140A0 18034116
	v_pk_mul_f32 v[162:163], v[22:23], v[162:163]              // 0000000090B4: D3B140A2 18034516
	v_pk_mul_f32 v[164:165], v[22:23], v[164:165]              // 0000000090BC: D3B140A4 18034916
	v_pk_mul_f32 v[166:167], v[22:23], v[166:167]              // 0000000090C4: D3B140A6 18034D16
	v_pk_mul_f32 v[168:169], v[22:23], v[168:169]              // 0000000090CC: D3B140A8 18035116
	v_pk_mul_f32 v[170:171], v[22:23], v[170:171]              // 0000000090D4: D3B140AA 18035516
	v_pk_mul_f32 v[172:173], v[22:23], v[172:173]              // 0000000090DC: D3B140AC 18035916
	v_pk_mul_f32 v[174:175], v[22:23], v[174:175]              // 0000000090E4: D3B140AE 18035D16
	v_pk_mul_f32 v[176:177], v[22:23], v[176:177]              // 0000000090EC: D3B140B0 18036116
	v_pk_mul_f32 v[178:179], v[22:23], v[178:179]              // 0000000090F4: D3B140B2 18036516
	v_pk_mul_f32 v[180:181], v[22:23], v[180:181]              // 0000000090FC: D3B140B4 18036916
	v_pk_mul_f32 v[182:183], v[22:23], v[182:183]              // 000000009104: D3B140B6 18036D16
	v_pk_mul_f32 v[184:185], v[22:23], v[184:185]              // 00000000910C: D3B140B8 18037116
	v_pk_mul_f32 v[186:187], v[22:23], v[186:187]              // 000000009114: D3B140BA 18037516
	v_pk_mul_f32 v[188:189], v[22:23], v[188:189]              // 00000000911C: D3B140BC 18037916
	v_pk_mul_f32 v[190:191], v[22:23], v[190:191]              // 000000009124: D3B140BE 18037D16
	v_pk_mul_f32 v[192:193], v[22:23], v[192:193]              // 00000000912C: D3B140C0 18038116
	v_pk_mul_f32 v[194:195], v[22:23], v[194:195]              // 000000009134: D3B140C2 18038516
	v_pk_mul_f32 v[196:197], v[22:23], v[196:197]              // 00000000913C: D3B140C4 18038916
	v_pk_mul_f32 v[198:199], v[22:23], v[198:199]              // 000000009144: D3B140C6 18038D16
	v_pk_mul_f32 v[200:201], v[22:23], v[200:201]              // 00000000914C: D3B140C8 18039116
	v_pk_mul_f32 v[202:203], v[22:23], v[202:203]              // 000000009154: D3B140CA 18039516
	v_pk_mul_f32 v[204:205], v[22:23], v[204:205]              // 00000000915C: D3B140CC 18039916
	v_pk_mul_f32 v[206:207], v[22:23], v[206:207]              // 000000009164: D3B140CE 18039D16
	v_pk_mul_f32 v[208:209], v[22:23], v[208:209]              // 00000000916C: D3B140D0 1803A116
	v_pk_mul_f32 v[210:211], v[22:23], v[210:211]              // 000000009174: D3B140D2 1803A516
	v_pk_mul_f32 v[212:213], v[22:23], v[212:213]              // 00000000917C: D3B140D4 1803A916
	v_pk_mul_f32 v[214:215], v[22:23], v[214:215]              // 000000009184: D3B140D6 1803AD16
	v_pk_mul_f32 v[216:217], v[22:23], v[216:217]              // 00000000918C: D3B140D8 1803B116
	v_pk_mul_f32 v[218:219], v[22:23], v[218:219]              // 000000009194: D3B140DA 1803B516
	v_pk_mul_f32 v[220:221], v[22:23], v[220:221]              // 00000000919C: D3B140DC 1803B916
	v_pk_mul_f32 v[222:223], v[22:23], v[222:223]              // 0000000091A4: D3B140DE 1803BD16
	v_pk_mul_f32 v[224:225], v[22:23], v[224:225]              // 0000000091AC: D3B140E0 1803C116
	v_pk_mul_f32 v[226:227], v[22:23], v[226:227]              // 0000000091B4: D3B140E2 1803C516
	v_pk_mul_f32 v[228:229], v[22:23], v[228:229]              // 0000000091BC: D3B140E4 1803C916
	v_pk_mul_f32 v[230:231], v[22:23], v[230:231]              // 0000000091C4: D3B140E6 1803CD16
	v_pk_mul_f32 v[232:233], v[22:23], v[232:233]              // 0000000091CC: D3B140E8 1803D116
	v_pk_mul_f32 v[234:235], v[22:23], v[234:235]              // 0000000091D4: D3B140EA 1803D516
	v_pk_mul_f32 v[236:237], v[22:23], v[236:237]              // 0000000091DC: D3B140EC 1803D916
	v_pk_mul_f32 v[238:239], v[22:23], v[238:239]              // 0000000091E4: D3B140EE 1803DD16
	v_pk_mul_f32 v[240:241], v[22:23], v[240:241]              // 0000000091EC: D3B140F0 1803E116
	v_pk_mul_f32 v[242:243], v[22:23], v[242:243]              // 0000000091F4: D3B140F2 1803E516
	v_pk_mul_f32 v[244:245], v[22:23], v[244:245]              // 0000000091FC: D3B140F4 1803E916
	v_pk_mul_f32 v[246:247], v[22:23], v[246:247]              // 000000009204: D3B140F6 1803ED16
	v_pk_mul_f32 v[248:249], v[22:23], v[248:249]              // 00000000920C: D3B140F8 1803F116
	v_pk_mul_f32 v[250:251], v[22:23], v[250:251]              // 000000009214: D3B140FA 1803F516
	v_pk_mul_f32 v[252:253], v[22:23], v[252:253]              // 00000000921C: D3B140FC 1803F916
	v_pk_mul_f32 v[254:255], v[22:23], v[254:255]              // 000000009224: D3B140FE 1803FD16
	v_accvgpr_read_b32 v20, a236                               // 00000000922C: D3D84014 180001EC
	v_accvgpr_read_b32 v21, a237                               // 000000009234: D3D84015 180001ED
	v_pk_mul_f32 v[20:21], v[22:23], v[20:21]                  // 00000000923C: D3B14014 18022916
	v_accvgpr_write_b32 a236, v20                              // 000000009244: D3D940EC 18000114
	v_accvgpr_write_b32 a237, v21                              // 00000000924C: D3D940ED 18000115
	v_accvgpr_read_b32 v20, a238                               // 000000009254: D3D84014 180001EE
	v_accvgpr_read_b32 v21, a239                               // 00000000925C: D3D84015 180001EF
	v_pk_mul_f32 v[20:21], v[22:23], v[20:21]                  // 000000009264: D3B14014 18022916
	v_accvgpr_write_b32 a238, v20                              // 00000000926C: D3D940EE 18000114
	v_accvgpr_write_b32 a239, v21                              // 000000009274: D3D940EF 18000115
	v_accvgpr_read_b32 v20, a240                               // 00000000927C: D3D84014 180001F0
	v_accvgpr_read_b32 v21, a241                               // 000000009284: D3D84015 180001F1
	v_pk_mul_f32 v[20:21], v[22:23], v[20:21]                  // 00000000928C: D3B14014 18022916
	v_accvgpr_write_b32 a240, v20                              // 000000009294: D3D940F0 18000114
	v_accvgpr_write_b32 a241, v21                              // 00000000929C: D3D940F1 18000115
	v_accvgpr_read_b32 v20, a242                               // 0000000092A4: D3D84014 180001F2
	v_accvgpr_read_b32 v21, a243                               // 0000000092AC: D3D84015 180001F3
	v_pk_mul_f32 v[20:21], v[22:23], v[20:21]                  // 0000000092B4: D3B14014 18022916
	v_accvgpr_write_b32 a242, v20                              // 0000000092BC: D3D940F2 18000114
	v_accvgpr_write_b32 a243, v21                              // 0000000092C4: D3D940F3 18000115
	v_accvgpr_read_b32 v20, a244                               // 0000000092CC: D3D84014 180001F4
	v_accvgpr_read_b32 v21, a245                               // 0000000092D4: D3D84015 180001F5
	v_pk_mul_f32 v[20:21], v[22:23], v[20:21]                  // 0000000092DC: D3B14014 18022916
	v_accvgpr_write_b32 a244, v20                              // 0000000092E4: D3D940F4 18000114
	v_accvgpr_write_b32 a245, v21                              // 0000000092EC: D3D940F5 18000115
	v_accvgpr_read_b32 v20, a246                               // 0000000092F4: D3D84014 180001F6
	v_accvgpr_read_b32 v21, a247                               // 0000000092FC: D3D84015 180001F7
	v_pk_mul_f32 v[20:21], v[22:23], v[20:21]                  // 000000009304: D3B14014 18022916
	v_accvgpr_write_b32 a246, v20                              // 00000000930C: D3D940F6 18000114
	v_accvgpr_write_b32 a247, v21                              // 000000009314: D3D940F7 18000115
	v_accvgpr_read_b32 v20, a248                               // 00000000931C: D3D84014 180001F8
	v_accvgpr_read_b32 v21, a249                               // 000000009324: D3D84015 180001F9
	v_pk_mul_f32 v[20:21], v[22:23], v[20:21]                  // 00000000932C: D3B14014 18022916
	v_accvgpr_write_b32 a248, v20                              // 000000009334: D3D940F8 18000114
	v_accvgpr_write_b32 a249, v21                              // 00000000933C: D3D940F9 18000115
	v_accvgpr_read_b32 v20, a250                               // 000000009344: D3D84014 180001FA
	v_accvgpr_read_b32 v21, a251                               // 00000000934C: D3D84015 180001FB
	v_pk_mul_f32 v[20:21], v[22:23], v[20:21]                  // 000000009354: D3B14014 18022916
	v_accvgpr_write_b32 a250, v20                              // 00000000935C: D3D940FA 18000114
	v_accvgpr_write_b32 a251, v21                              // 000000009364: D3D940FB 18000115
	v_accvgpr_read_b32 v20, a252                               // 00000000936C: D3D84014 180001FC
	v_accvgpr_read_b32 v21, a253                               // 000000009374: D3D84015 180001FD
	v_pk_mul_f32 v[20:21], v[22:23], v[20:21]                  // 00000000937C: D3B14014 18022916
	v_accvgpr_write_b32 a252, v20                              // 000000009384: D3D940FC 18000114
	v_accvgpr_write_b32 a253, v21                              // 00000000938C: D3D940FD 18000115
	v_accvgpr_read_b32 v20, a254                               // 000000009394: D3D84014 180001FE
	v_accvgpr_read_b32 v21, a255                               // 00000000939C: D3D84015 180001FF
	v_pk_mul_f32 v[20:21], v[22:23], v[20:21]                  // 0000000093A4: D3B14014 18022916
	v_accvgpr_write_b32 a254, v20                              // 0000000093AC: D3D940FE 18000114
	v_accvgpr_write_b32 a255, v21                              // 0000000093B4: D3D940FF 18000115
	s_waitcnt vmcnt(18) lgkmcnt(0)                             // 0000000093BC: BF8C4072
	s_barrier                                                  // 0000000093C0: BF8A0000
	v_mfma_f32_16x16x16_bf16 v[148:151], a[144:145], v[36:37], v[148:151]// 0000000093C4: D3E10094 0E524990
	v_mfma_f32_16x16x16_bf16 v[152:155], a[146:147], v[36:37], v[152:155]// 0000000093CC: D3E10098 0E624992
	v_mfma_f32_16x16x16_bf16 v[156:159], a[148:149], v[36:37], v[156:159]// 0000000093D4: D3E1009C 0E724994
	v_mfma_f32_16x16x16_bf16 v[160:163], a[150:151], v[36:37], v[160:163]// 0000000093DC: D3E100A0 0E824996
	v_mfma_f32_16x16x16_bf16 v[164:167], a[152:153], v[36:37], v[164:167]// 0000000093E4: D3E100A4 0E924998
	v_mfma_f32_16x16x16_bf16 v[168:171], a[154:155], v[36:37], v[168:171]// 0000000093EC: D3E100A8 0EA2499A
	v_mfma_f32_16x16x16_bf16 v[172:175], a[156:157], v[36:37], v[172:175]// 0000000093F4: D3E100AC 0EB2499C
	v_mfma_f32_16x16x16_bf16 v[176:179], a[158:159], v[36:37], v[176:179]// 0000000093FC: D3E100B0 0EC2499E
	v_mfma_f32_16x16x16_bf16 v[180:183], a[160:161], v[36:37], v[180:183]// 000000009404: D3E100B4 0ED249A0
	v_mfma_f32_16x16x16_bf16 v[184:187], a[162:163], v[36:37], v[184:187]// 00000000940C: D3E100B8 0EE249A2
	v_mfma_f32_16x16x16_bf16 v[188:191], a[164:165], v[36:37], v[188:191]// 000000009414: D3E100BC 0EF249A4
	v_mfma_f32_16x16x16_bf16 v[192:195], a[166:167], v[36:37], v[192:195]// 00000000941C: D3E100C0 0F0249A6
	v_mfma_f32_16x16x16_bf16 v[196:199], a[168:169], v[36:37], v[196:199]// 000000009424: D3E100C4 0F1249A8
	v_mfma_f32_16x16x16_bf16 v[200:203], a[170:171], v[36:37], v[200:203]// 00000000942C: D3E100C8 0F2249AA
	v_mfma_f32_16x16x16_bf16 v[204:207], a[172:173], v[36:37], v[204:207]// 000000009434: D3E100CC 0F3249AC
	v_mfma_f32_16x16x16_bf16 v[208:211], a[174:175], v[36:37], v[208:211]// 00000000943C: D3E100D0 0F4249AE
	v_mfma_f32_16x16x16_bf16 v[212:215], a[176:177], v[36:37], v[212:215]// 000000009444: D3E100D4 0F5249B0
	v_mfma_f32_16x16x16_bf16 v[216:219], a[178:179], v[36:37], v[216:219]// 00000000944C: D3E100D8 0F6249B2
	v_mfma_f32_16x16x16_bf16 v[220:223], a[180:181], v[36:37], v[220:223]// 000000009454: D3E100DC 0F7249B4
	v_mfma_f32_16x16x16_bf16 v[224:227], a[182:183], v[36:37], v[224:227]// 00000000945C: D3E100E0 0F8249B6
	v_mfma_f32_16x16x16_bf16 v[228:231], a[184:185], v[36:37], v[228:231]// 000000009464: D3E100E4 0F9249B8
	v_mfma_f32_16x16x16_bf16 v[232:235], a[186:187], v[36:37], v[232:235]// 00000000946C: D3E100E8 0FA249BA
	v_mfma_f32_16x16x16_bf16 v[236:239], a[188:189], v[36:37], v[236:239]// 000000009474: D3E100EC 0FB249BC
	v_mfma_f32_16x16x16_bf16 v[240:243], a[190:191], v[36:37], v[240:243]// 00000000947C: D3E100F0 0FC249BE
	v_mfma_f32_16x16x16_bf16 v[244:247], a[192:193], v[36:37], v[244:247]// 000000009484: D3E100F4 0FD249C0
	v_mfma_f32_16x16x16_bf16 v[248:251], a[194:195], v[36:37], v[248:251]// 00000000948C: D3E100F8 0FE249C2
	v_mfma_f32_16x16x16_bf16 v[252:255], a[196:197], v[36:37], v[252:255]// 000000009494: D3E100FC 0FF249C4
	v_mfma_f32_16x16x16_bf16 a[236:239], a[198:199], v[36:37], a[236:239]// 00000000949C: D3E180EC 0FB249C6
	v_mfma_f32_16x16x16_bf16 a[240:243], a[200:201], v[36:37], a[240:243]// 0000000094A4: D3E180F0 0FC249C8
	v_mfma_f32_16x16x16_bf16 a[244:247], a[202:203], v[36:37], a[244:247]// 0000000094AC: D3E180F4 0FD249CA
	v_mfma_f32_16x16x16_bf16 a[248:251], a[204:205], v[36:37], a[248:251]// 0000000094B4: D3E180F8 0FE249CC
	v_mfma_f32_16x16x16_bf16 a[252:255], a[206:207], v[36:37], a[252:255]// 0000000094BC: D3E180FC 0FF249CE
	s_nop 8                                                    // 0000000094C4: BF800008
	s_branch label_2133                                        // 0000000094C8: BF820000

00000000000094cc <label_2133>:
	ds_write_b32 v3, v14 offset:55552                          // 0000000094CC: D81AD900 00000E03
	ds_write_b32 v3, v15 offset:56576                          // 0000000094D4: D81ADD00 00000F03
	s_waitcnt lgkmcnt(0)                                       // 0000000094DC: BF8CC07F
	ds_read_b32 v20, v2 offset:55552                           // 0000000094E0: D86CD900 14000002
	ds_read_b32 v21, v2 offset:55616                           // 0000000094E8: D86CD940 15000002
	ds_read_b32 v22, v2 offset:55680                           // 0000000094F0: D86CD980 16000002
	ds_read_b32 v23, v2 offset:55744                           // 0000000094F8: D86CD9C0 17000002
	ds_read_b32 v24, v2 offset:56576                           // 000000009500: D86CDD00 18000002
	ds_read_b32 v25, v2 offset:56640                           // 000000009508: D86CDD40 19000002
	ds_read_b32 v26, v2 offset:56704                           // 000000009510: D86CDD80 1A000002
	ds_read_b32 v27, v2 offset:56768                           // 000000009518: D86CDDC0 1B000002
	s_waitcnt lgkmcnt(0)                                       // 000000009520: BF8CC07F
	v_mov_b32_e32 v14, 0                                       // 000000009524: 7E1C0280
	v_mov_b32_e32 v15, 0                                       // 000000009528: 7E1E0280
	v_add_f32_e32 v14, v20, v14                                // 00000000952C: 021C1D14
	v_add_f32_e32 v15, v24, v15                                // 000000009530: 021E1F18
	v_add_f32_e32 v14, v21, v14                                // 000000009534: 021C1D15
	v_add_f32_e32 v15, v25, v15                                // 000000009538: 021E1F19
	v_add_f32_e32 v14, v22, v14                                // 00000000953C: 021C1D16
	v_add_f32_e32 v15, v26, v15                                // 000000009540: 021E1F1A
	v_add_f32_e32 v14, v23, v14                                // 000000009544: 021C1D17
	v_add_f32_e32 v15, v27, v15                                // 000000009548: 021E1F1B
	v_mov_b32_e32 v20, 0                                       // 00000000954C: 7E280280
	v_cmp_eq_u32_e64 s[38:39], v20, v14                        // 000000009550: D0CA0026 00021D14
	v_cmp_eq_u32_e64 s[40:41], v20, v15                        // 000000009558: D0CA0028 00021F14
	v_mul_f32_e64 v20, v12, s64                                // 000000009560: D1050014 0000810C
	v_mul_f32_e64 v22, v13, s64                                // 000000009568: D1050016 0000810D
	v_log_f32_e32 v21, v14                                     // 000000009570: 7E2A430E
	v_log_f32_e32 v23, v15                                     // 000000009574: 7E2E430F
	v_cndmask_b32_e64 v14, v14, 1.0, s[38:39]                  // 000000009578: D100000E 0099E50E
	v_cndmask_b32_e64 v15, v15, 1.0, s[40:41]                  // 000000009580: D100000F 00A1E50F
	s_nop 1                                                    // 000000009588: BF800001
	v_rcp_f32_e32 v14, v14                                     // 00000000958C: 7E1C450E
	v_rcp_f32_e32 v15, v15                                     // 000000009590: 7E1E450F
	s_nop 1                                                    // 000000009594: BF800001
	v_fma_f32 v24, v21, s63, v20                               // 000000009598: D1CB0018 04507F15
	v_fma_f32 v25, v23, s63, v22                               // 0000000095A0: D1CB0019 04587F17
	v_mul_f32_e32 v40, v14, v40                                // 0000000095A8: 0A50510E
	v_mul_f32_e32 v41, v14, v41                                // 0000000095AC: 0A52530E
	v_mul_f32_e32 v42, v14, v42                                // 0000000095B0: 0A54550E
	v_mul_f32_e32 v43, v14, v43                                // 0000000095B4: 0A56570E
	v_mul_f32_e32 v44, v14, v44                                // 0000000095B8: 0A58590E
	v_mul_f32_e32 v45, v14, v45                                // 0000000095BC: 0A5A5B0E
	v_mul_f32_e32 v46, v14, v46                                // 0000000095C0: 0A5C5D0E
	v_mul_f32_e32 v47, v14, v47                                // 0000000095C4: 0A5E5F0E
	v_mul_f32_e32 v48, v14, v48                                // 0000000095C8: 0A60610E
	v_mul_f32_e32 v49, v14, v49                                // 0000000095CC: 0A62630E
	v_mul_f32_e32 v50, v14, v50                                // 0000000095D0: 0A64650E
	v_mul_f32_e32 v51, v14, v51                                // 0000000095D4: 0A66670E
	v_mul_f32_e32 v52, v14, v52                                // 0000000095D8: 0A68690E
	v_mul_f32_e32 v53, v14, v53                                // 0000000095DC: 0A6A6B0E
	v_mul_f32_e32 v54, v14, v54                                // 0000000095E0: 0A6C6D0E
	v_mul_f32_e32 v55, v14, v55                                // 0000000095E4: 0A6E6F0E
	v_mul_f32_e32 v56, v14, v56                                // 0000000095E8: 0A70710E
	v_mul_f32_e32 v57, v14, v57                                // 0000000095EC: 0A72730E
	v_mul_f32_e32 v58, v14, v58                                // 0000000095F0: 0A74750E
	v_mul_f32_e32 v59, v14, v59                                // 0000000095F4: 0A76770E
	v_mul_f32_e32 v60, v14, v60                                // 0000000095F8: 0A78790E
	v_mul_f32_e32 v61, v14, v61                                // 0000000095FC: 0A7A7B0E
	v_mul_f32_e32 v62, v14, v62                                // 000000009600: 0A7C7D0E
	v_mul_f32_e32 v63, v14, v63                                // 000000009604: 0A7E7F0E
	v_mul_f32_e32 v64, v14, v64                                // 000000009608: 0A80810E
	v_mul_f32_e32 v65, v14, v65                                // 00000000960C: 0A82830E
	v_mul_f32_e32 v66, v14, v66                                // 000000009610: 0A84850E
	v_mul_f32_e32 v67, v14, v67                                // 000000009614: 0A86870E
	v_mul_f32_e32 v68, v14, v68                                // 000000009618: 0A88890E
	v_mul_f32_e32 v69, v14, v69                                // 00000000961C: 0A8A8B0E
	v_mul_f32_e32 v70, v14, v70                                // 000000009620: 0A8C8D0E
	v_mul_f32_e32 v71, v14, v71                                // 000000009624: 0A8E8F0E
	v_mul_f32_e32 v72, v14, v72                                // 000000009628: 0A90910E
	v_mul_f32_e32 v73, v14, v73                                // 00000000962C: 0A92930E
	v_mul_f32_e32 v74, v14, v74                                // 000000009630: 0A94950E
	v_mul_f32_e32 v75, v14, v75                                // 000000009634: 0A96970E
	v_mul_f32_e32 v76, v14, v76                                // 000000009638: 0A98990E
	v_mul_f32_e32 v77, v14, v77                                // 00000000963C: 0A9A9B0E
	v_mul_f32_e32 v78, v14, v78                                // 000000009640: 0A9C9D0E
	v_mul_f32_e32 v79, v14, v79                                // 000000009644: 0A9E9F0E
	v_mul_f32_e32 v80, v14, v80                                // 000000009648: 0AA0A10E
	v_mul_f32_e32 v81, v14, v81                                // 00000000964C: 0AA2A30E
	v_mul_f32_e32 v82, v14, v82                                // 000000009650: 0AA4A50E
	v_mul_f32_e32 v83, v14, v83                                // 000000009654: 0AA6A70E
	v_mul_f32_e32 v84, v14, v84                                // 000000009658: 0AA8A90E
	v_mul_f32_e32 v85, v14, v85                                // 00000000965C: 0AAAAB0E
	v_mul_f32_e32 v86, v14, v86                                // 000000009660: 0AACAD0E
	v_mul_f32_e32 v87, v14, v87                                // 000000009664: 0AAEAF0E
	v_mul_f32_e32 v88, v14, v88                                // 000000009668: 0AB0B10E
	v_mul_f32_e32 v89, v14, v89                                // 00000000966C: 0AB2B30E
	v_mul_f32_e32 v90, v14, v90                                // 000000009670: 0AB4B50E
	v_mul_f32_e32 v91, v14, v91                                // 000000009674: 0AB6B70E
	v_mul_f32_e32 v92, v14, v92                                // 000000009678: 0AB8B90E
	v_mul_f32_e32 v93, v14, v93                                // 00000000967C: 0ABABB0E
	v_mul_f32_e32 v94, v14, v94                                // 000000009680: 0ABCBD0E
	v_mul_f32_e32 v95, v14, v95                                // 000000009684: 0ABEBF0E
	v_mul_f32_e32 v96, v14, v96                                // 000000009688: 0AC0C10E
	v_mul_f32_e32 v97, v14, v97                                // 00000000968C: 0AC2C30E
	v_mul_f32_e32 v98, v14, v98                                // 000000009690: 0AC4C50E
	v_mul_f32_e32 v99, v14, v99                                // 000000009694: 0AC6C70E
	v_mul_f32_e32 v100, v14, v100                              // 000000009698: 0AC8C90E
	v_mul_f32_e32 v101, v14, v101                              // 00000000969C: 0ACACB0E
	v_mul_f32_e32 v102, v14, v102                              // 0000000096A0: 0ACCCD0E
	v_mul_f32_e32 v103, v14, v103                              // 0000000096A4: 0ACECF0E
	v_mul_f32_e32 v104, v14, v104                              // 0000000096A8: 0AD0D10E
	v_mul_f32_e32 v105, v14, v105                              // 0000000096AC: 0AD2D30E
	v_mul_f32_e32 v106, v14, v106                              // 0000000096B0: 0AD4D50E
	v_mul_f32_e32 v107, v14, v107                              // 0000000096B4: 0AD6D70E
	v_mul_f32_e32 v108, v14, v108                              // 0000000096B8: 0AD8D90E
	v_mul_f32_e32 v109, v14, v109                              // 0000000096BC: 0ADADB0E
	v_mul_f32_e32 v110, v14, v110                              // 0000000096C0: 0ADCDD0E
	v_mul_f32_e32 v111, v14, v111                              // 0000000096C4: 0ADEDF0E
	v_mul_f32_e32 v112, v14, v112                              // 0000000096C8: 0AE0E10E
	v_mul_f32_e32 v113, v14, v113                              // 0000000096CC: 0AE2E30E
	v_mul_f32_e32 v114, v14, v114                              // 0000000096D0: 0AE4E50E
	v_mul_f32_e32 v115, v14, v115                              // 0000000096D4: 0AE6E70E
	v_mul_f32_e32 v116, v14, v116                              // 0000000096D8: 0AE8E90E
	v_mul_f32_e32 v117, v14, v117                              // 0000000096DC: 0AEAEB0E
	v_mul_f32_e32 v118, v14, v118                              // 0000000096E0: 0AECED0E
	v_mul_f32_e32 v119, v14, v119                              // 0000000096E4: 0AEEEF0E
	v_mul_f32_e32 v120, v14, v120                              // 0000000096E8: 0AF0F10E
	v_mul_f32_e32 v121, v14, v121                              // 0000000096EC: 0AF2F30E
	v_mul_f32_e32 v122, v14, v122                              // 0000000096F0: 0AF4F50E
	v_mul_f32_e32 v123, v14, v123                              // 0000000096F4: 0AF6F70E
	v_mul_f32_e32 v124, v14, v124                              // 0000000096F8: 0AF8F90E
	v_mul_f32_e32 v125, v14, v125                              // 0000000096FC: 0AFAFB0E
	v_mul_f32_e32 v126, v14, v126                              // 000000009700: 0AFCFD0E
	v_mul_f32_e32 v127, v14, v127                              // 000000009704: 0AFEFF0E
	v_mul_f32_e32 v128, v14, v128                              // 000000009708: 0B01010E
	v_mul_f32_e32 v129, v14, v129                              // 00000000970C: 0B03030E
	v_mul_f32_e32 v130, v14, v130                              // 000000009710: 0B05050E
	v_mul_f32_e32 v131, v14, v131                              // 000000009714: 0B07070E
	v_mul_f32_e32 v132, v14, v132                              // 000000009718: 0B09090E
	v_mul_f32_e32 v133, v14, v133                              // 00000000971C: 0B0B0B0E
	v_mul_f32_e32 v134, v14, v134                              // 000000009720: 0B0D0D0E
	v_mul_f32_e32 v135, v14, v135                              // 000000009724: 0B0F0F0E
	v_mul_f32_e32 v136, v14, v136                              // 000000009728: 0B11110E
	v_mul_f32_e32 v137, v14, v137                              // 00000000972C: 0B13130E
	v_mul_f32_e32 v138, v14, v138                              // 000000009730: 0B15150E
	v_mul_f32_e32 v139, v14, v139                              // 000000009734: 0B17170E
	v_mul_f32_e32 v140, v14, v140                              // 000000009738: 0B19190E
	v_mul_f32_e32 v141, v14, v141                              // 00000000973C: 0B1B1B0E
	v_mul_f32_e32 v142, v14, v142                              // 000000009740: 0B1D1D0E
	v_mul_f32_e32 v143, v14, v143                              // 000000009744: 0B1F1F0E
	v_mul_f32_e32 v144, v14, v144                              // 000000009748: 0B21210E
	v_mul_f32_e32 v145, v14, v145                              // 00000000974C: 0B23230E
	v_mul_f32_e32 v146, v14, v146                              // 000000009750: 0B25250E
	v_mul_f32_e32 v147, v14, v147                              // 000000009754: 0B27270E
	v_accvgpr_read_b32 v20, a216                               // 000000009758: D3D84014 180001D8
	v_accvgpr_read_b32 v21, a217                               // 000000009760: D3D84015 180001D9
	v_mul_f32_e32 v20, v14, v20                                // 000000009768: 0A28290E
	v_mul_f32_e32 v21, v14, v21                                // 00000000976C: 0A2A2B0E
	v_accvgpr_write_b32 a216, v20                              // 000000009770: D3D940D8 18000114
	v_accvgpr_write_b32 a217, v21                              // 000000009778: D3D940D9 18000115
	v_accvgpr_read_b32 v20, a218                               // 000000009780: D3D84014 180001DA
	v_accvgpr_read_b32 v21, a219                               // 000000009788: D3D84015 180001DB
	v_mul_f32_e32 v20, v14, v20                                // 000000009790: 0A28290E
	v_mul_f32_e32 v21, v14, v21                                // 000000009794: 0A2A2B0E
	v_accvgpr_write_b32 a218, v20                              // 000000009798: D3D940DA 18000114
	v_accvgpr_write_b32 a219, v21                              // 0000000097A0: D3D940DB 18000115
	v_accvgpr_read_b32 v20, a220                               // 0000000097A8: D3D84014 180001DC
	v_accvgpr_read_b32 v21, a221                               // 0000000097B0: D3D84015 180001DD
	v_mul_f32_e32 v20, v14, v20                                // 0000000097B8: 0A28290E
	v_mul_f32_e32 v21, v14, v21                                // 0000000097BC: 0A2A2B0E
	v_accvgpr_write_b32 a220, v20                              // 0000000097C0: D3D940DC 18000114
	v_accvgpr_write_b32 a221, v21                              // 0000000097C8: D3D940DD 18000115
	v_accvgpr_read_b32 v20, a222                               // 0000000097D0: D3D84014 180001DE
	v_accvgpr_read_b32 v21, a223                               // 0000000097D8: D3D84015 180001DF
	v_mul_f32_e32 v20, v14, v20                                // 0000000097E0: 0A28290E
	v_mul_f32_e32 v21, v14, v21                                // 0000000097E4: 0A2A2B0E
	v_accvgpr_write_b32 a222, v20                              // 0000000097E8: D3D940DE 18000114
	v_accvgpr_write_b32 a223, v21                              // 0000000097F0: D3D940DF 18000115
	v_accvgpr_read_b32 v20, a224                               // 0000000097F8: D3D84014 180001E0
	v_accvgpr_read_b32 v21, a225                               // 000000009800: D3D84015 180001E1
	v_mul_f32_e32 v20, v14, v20                                // 000000009808: 0A28290E
	v_mul_f32_e32 v21, v14, v21                                // 00000000980C: 0A2A2B0E
	v_accvgpr_write_b32 a224, v20                              // 000000009810: D3D940E0 18000114
	v_accvgpr_write_b32 a225, v21                              // 000000009818: D3D940E1 18000115
	v_accvgpr_read_b32 v20, a226                               // 000000009820: D3D84014 180001E2
	v_accvgpr_read_b32 v21, a227                               // 000000009828: D3D84015 180001E3
	v_mul_f32_e32 v20, v14, v20                                // 000000009830: 0A28290E
	v_mul_f32_e32 v21, v14, v21                                // 000000009834: 0A2A2B0E
	v_accvgpr_write_b32 a226, v20                              // 000000009838: D3D940E2 18000114
	v_accvgpr_write_b32 a227, v21                              // 000000009840: D3D940E3 18000115
	v_accvgpr_read_b32 v20, a228                               // 000000009848: D3D84014 180001E4
	v_accvgpr_read_b32 v21, a229                               // 000000009850: D3D84015 180001E5
	v_mul_f32_e32 v20, v14, v20                                // 000000009858: 0A28290E
	v_mul_f32_e32 v21, v14, v21                                // 00000000985C: 0A2A2B0E
	v_accvgpr_write_b32 a228, v20                              // 000000009860: D3D940E4 18000114
	v_accvgpr_write_b32 a229, v21                              // 000000009868: D3D940E5 18000115
	v_accvgpr_read_b32 v20, a230                               // 000000009870: D3D84014 180001E6
	v_accvgpr_read_b32 v21, a231                               // 000000009878: D3D84015 180001E7
	v_mul_f32_e32 v20, v14, v20                                // 000000009880: 0A28290E
	v_mul_f32_e32 v21, v14, v21                                // 000000009884: 0A2A2B0E
	v_accvgpr_write_b32 a230, v20                              // 000000009888: D3D940E6 18000114
	v_accvgpr_write_b32 a231, v21                              // 000000009890: D3D940E7 18000115
	v_accvgpr_read_b32 v20, a232                               // 000000009898: D3D84014 180001E8
	v_accvgpr_read_b32 v21, a233                               // 0000000098A0: D3D84015 180001E9
	v_mul_f32_e32 v20, v14, v20                                // 0000000098A8: 0A28290E
	v_mul_f32_e32 v21, v14, v21                                // 0000000098AC: 0A2A2B0E
	v_accvgpr_write_b32 a232, v20                              // 0000000098B0: D3D940E8 18000114
	v_accvgpr_write_b32 a233, v21                              // 0000000098B8: D3D940E9 18000115
	v_accvgpr_read_b32 v20, a234                               // 0000000098C0: D3D84014 180001EA
	v_accvgpr_read_b32 v21, a235                               // 0000000098C8: D3D84015 180001EB
	v_mul_f32_e32 v20, v14, v20                                // 0000000098D0: 0A28290E
	v_mul_f32_e32 v21, v14, v21                                // 0000000098D4: 0A2A2B0E
	v_accvgpr_write_b32 a234, v20                              // 0000000098D8: D3D940EA 18000114
	v_accvgpr_write_b32 a235, v21                              // 0000000098E0: D3D940EB 18000115
	v_mul_f32_e32 v148, v15, v148                              // 0000000098E8: 0B29290F
	v_mul_f32_e32 v149, v15, v149                              // 0000000098EC: 0B2B2B0F
	v_mul_f32_e32 v150, v15, v150                              // 0000000098F0: 0B2D2D0F
	v_mul_f32_e32 v151, v15, v151                              // 0000000098F4: 0B2F2F0F
	v_mul_f32_e32 v152, v15, v152                              // 0000000098F8: 0B31310F
	v_mul_f32_e32 v153, v15, v153                              // 0000000098FC: 0B33330F
	v_mul_f32_e32 v154, v15, v154                              // 000000009900: 0B35350F
	v_mul_f32_e32 v155, v15, v155                              // 000000009904: 0B37370F
	v_mul_f32_e32 v156, v15, v156                              // 000000009908: 0B39390F
	v_mul_f32_e32 v157, v15, v157                              // 00000000990C: 0B3B3B0F
	v_mul_f32_e32 v158, v15, v158                              // 000000009910: 0B3D3D0F
	v_mul_f32_e32 v159, v15, v159                              // 000000009914: 0B3F3F0F
	v_mul_f32_e32 v160, v15, v160                              // 000000009918: 0B41410F
	v_mul_f32_e32 v161, v15, v161                              // 00000000991C: 0B43430F
	v_mul_f32_e32 v162, v15, v162                              // 000000009920: 0B45450F
	v_mul_f32_e32 v163, v15, v163                              // 000000009924: 0B47470F
	v_mul_f32_e32 v164, v15, v164                              // 000000009928: 0B49490F
	v_mul_f32_e32 v165, v15, v165                              // 00000000992C: 0B4B4B0F
	v_mul_f32_e32 v166, v15, v166                              // 000000009930: 0B4D4D0F
	v_mul_f32_e32 v167, v15, v167                              // 000000009934: 0B4F4F0F
	v_mul_f32_e32 v168, v15, v168                              // 000000009938: 0B51510F
	v_mul_f32_e32 v169, v15, v169                              // 00000000993C: 0B53530F
	v_mul_f32_e32 v170, v15, v170                              // 000000009940: 0B55550F
	v_mul_f32_e32 v171, v15, v171                              // 000000009944: 0B57570F
	v_mul_f32_e32 v172, v15, v172                              // 000000009948: 0B59590F
	v_mul_f32_e32 v173, v15, v173                              // 00000000994C: 0B5B5B0F
	v_mul_f32_e32 v174, v15, v174                              // 000000009950: 0B5D5D0F
	v_mul_f32_e32 v175, v15, v175                              // 000000009954: 0B5F5F0F
	v_mul_f32_e32 v176, v15, v176                              // 000000009958: 0B61610F
	v_mul_f32_e32 v177, v15, v177                              // 00000000995C: 0B63630F
	v_mul_f32_e32 v178, v15, v178                              // 000000009960: 0B65650F
	v_mul_f32_e32 v179, v15, v179                              // 000000009964: 0B67670F
	v_mul_f32_e32 v180, v15, v180                              // 000000009968: 0B69690F
	v_mul_f32_e32 v181, v15, v181                              // 00000000996C: 0B6B6B0F
	v_mul_f32_e32 v182, v15, v182                              // 000000009970: 0B6D6D0F
	v_mul_f32_e32 v183, v15, v183                              // 000000009974: 0B6F6F0F
	v_mul_f32_e32 v184, v15, v184                              // 000000009978: 0B71710F
	v_mul_f32_e32 v185, v15, v185                              // 00000000997C: 0B73730F
	v_mul_f32_e32 v186, v15, v186                              // 000000009980: 0B75750F
	v_mul_f32_e32 v187, v15, v187                              // 000000009984: 0B77770F
	v_mul_f32_e32 v188, v15, v188                              // 000000009988: 0B79790F
	v_mul_f32_e32 v189, v15, v189                              // 00000000998C: 0B7B7B0F
	v_mul_f32_e32 v190, v15, v190                              // 000000009990: 0B7D7D0F
	v_mul_f32_e32 v191, v15, v191                              // 000000009994: 0B7F7F0F
	v_mul_f32_e32 v192, v15, v192                              // 000000009998: 0B81810F
	v_mul_f32_e32 v193, v15, v193                              // 00000000999C: 0B83830F
	v_mul_f32_e32 v194, v15, v194                              // 0000000099A0: 0B85850F
	v_mul_f32_e32 v195, v15, v195                              // 0000000099A4: 0B87870F
	v_mul_f32_e32 v196, v15, v196                              // 0000000099A8: 0B89890F
	v_mul_f32_e32 v197, v15, v197                              // 0000000099AC: 0B8B8B0F
	v_mul_f32_e32 v198, v15, v198                              // 0000000099B0: 0B8D8D0F
	v_mul_f32_e32 v199, v15, v199                              // 0000000099B4: 0B8F8F0F
	v_mul_f32_e32 v200, v15, v200                              // 0000000099B8: 0B91910F
	v_mul_f32_e32 v201, v15, v201                              // 0000000099BC: 0B93930F
	v_mul_f32_e32 v202, v15, v202                              // 0000000099C0: 0B95950F
	v_mul_f32_e32 v203, v15, v203                              // 0000000099C4: 0B97970F
	v_mul_f32_e32 v204, v15, v204                              // 0000000099C8: 0B99990F
	v_mul_f32_e32 v205, v15, v205                              // 0000000099CC: 0B9B9B0F
	v_mul_f32_e32 v206, v15, v206                              // 0000000099D0: 0B9D9D0F
	v_mul_f32_e32 v207, v15, v207                              // 0000000099D4: 0B9F9F0F
	v_mul_f32_e32 v208, v15, v208                              // 0000000099D8: 0BA1A10F
	v_mul_f32_e32 v209, v15, v209                              // 0000000099DC: 0BA3A30F
	v_mul_f32_e32 v210, v15, v210                              // 0000000099E0: 0BA5A50F
	v_mul_f32_e32 v211, v15, v211                              // 0000000099E4: 0BA7A70F
	v_mul_f32_e32 v212, v15, v212                              // 0000000099E8: 0BA9A90F
	v_mul_f32_e32 v213, v15, v213                              // 0000000099EC: 0BABAB0F
	v_mul_f32_e32 v214, v15, v214                              // 0000000099F0: 0BADAD0F
	v_mul_f32_e32 v215, v15, v215                              // 0000000099F4: 0BAFAF0F
	v_mul_f32_e32 v216, v15, v216                              // 0000000099F8: 0BB1B10F
	v_mul_f32_e32 v217, v15, v217                              // 0000000099FC: 0BB3B30F
	v_mul_f32_e32 v218, v15, v218                              // 000000009A00: 0BB5B50F
	v_mul_f32_e32 v219, v15, v219                              // 000000009A04: 0BB7B70F
	v_mul_f32_e32 v220, v15, v220                              // 000000009A08: 0BB9B90F
	v_mul_f32_e32 v221, v15, v221                              // 000000009A0C: 0BBBBB0F
	v_mul_f32_e32 v222, v15, v222                              // 000000009A10: 0BBDBD0F
	v_mul_f32_e32 v223, v15, v223                              // 000000009A14: 0BBFBF0F
	v_mul_f32_e32 v224, v15, v224                              // 000000009A18: 0BC1C10F
	v_mul_f32_e32 v225, v15, v225                              // 000000009A1C: 0BC3C30F
	v_mul_f32_e32 v226, v15, v226                              // 000000009A20: 0BC5C50F
	v_mul_f32_e32 v227, v15, v227                              // 000000009A24: 0BC7C70F
	v_mul_f32_e32 v228, v15, v228                              // 000000009A28: 0BC9C90F
	v_mul_f32_e32 v229, v15, v229                              // 000000009A2C: 0BCBCB0F
	v_mul_f32_e32 v230, v15, v230                              // 000000009A30: 0BCDCD0F
	v_mul_f32_e32 v231, v15, v231                              // 000000009A34: 0BCFCF0F
	v_mul_f32_e32 v232, v15, v232                              // 000000009A38: 0BD1D10F
	v_mul_f32_e32 v233, v15, v233                              // 000000009A3C: 0BD3D30F
	v_mul_f32_e32 v234, v15, v234                              // 000000009A40: 0BD5D50F
	v_mul_f32_e32 v235, v15, v235                              // 000000009A44: 0BD7D70F
	v_mul_f32_e32 v236, v15, v236                              // 000000009A48: 0BD9D90F
	v_mul_f32_e32 v237, v15, v237                              // 000000009A4C: 0BDBDB0F
	v_mul_f32_e32 v238, v15, v238                              // 000000009A50: 0BDDDD0F
	v_mul_f32_e32 v239, v15, v239                              // 000000009A54: 0BDFDF0F
	v_mul_f32_e32 v240, v15, v240                              // 000000009A58: 0BE1E10F
	v_mul_f32_e32 v241, v15, v241                              // 000000009A5C: 0BE3E30F
	v_mul_f32_e32 v242, v15, v242                              // 000000009A60: 0BE5E50F
	v_mul_f32_e32 v243, v15, v243                              // 000000009A64: 0BE7E70F
	v_mul_f32_e32 v244, v15, v244                              // 000000009A68: 0BE9E90F
	v_mul_f32_e32 v245, v15, v245                              // 000000009A6C: 0BEBEB0F
	v_mul_f32_e32 v246, v15, v246                              // 000000009A70: 0BEDED0F
	v_mul_f32_e32 v247, v15, v247                              // 000000009A74: 0BEFEF0F
	v_mul_f32_e32 v248, v15, v248                              // 000000009A78: 0BF1F10F
	v_mul_f32_e32 v249, v15, v249                              // 000000009A7C: 0BF3F30F
	v_mul_f32_e32 v250, v15, v250                              // 000000009A80: 0BF5F50F
	v_mul_f32_e32 v251, v15, v251                              // 000000009A84: 0BF7F70F
	v_mul_f32_e32 v252, v15, v252                              // 000000009A88: 0BF9F90F
	v_mul_f32_e32 v253, v15, v253                              // 000000009A8C: 0BFBFB0F
	v_mul_f32_e32 v254, v15, v254                              // 000000009A90: 0BFDFD0F
	v_mul_f32_e32 v255, v15, v255                              // 000000009A94: 0BFFFF0F
	v_accvgpr_read_b32 v20, a236                               // 000000009A98: D3D84014 180001EC
	v_accvgpr_read_b32 v21, a237                               // 000000009AA0: D3D84015 180001ED
	v_mul_f32_e32 v20, v15, v20                                // 000000009AA8: 0A28290F
	v_mul_f32_e32 v21, v15, v21                                // 000000009AAC: 0A2A2B0F
	v_accvgpr_write_b32 a236, v20                              // 000000009AB0: D3D940EC 18000114
	v_accvgpr_write_b32 a237, v21                              // 000000009AB8: D3D940ED 18000115
	v_accvgpr_read_b32 v20, a238                               // 000000009AC0: D3D84014 180001EE
	v_accvgpr_read_b32 v21, a239                               // 000000009AC8: D3D84015 180001EF
	v_mul_f32_e32 v20, v15, v20                                // 000000009AD0: 0A28290F
	v_mul_f32_e32 v21, v15, v21                                // 000000009AD4: 0A2A2B0F
	v_accvgpr_write_b32 a238, v20                              // 000000009AD8: D3D940EE 18000114
	v_accvgpr_write_b32 a239, v21                              // 000000009AE0: D3D940EF 18000115
	v_accvgpr_read_b32 v20, a240                               // 000000009AE8: D3D84014 180001F0
	v_accvgpr_read_b32 v21, a241                               // 000000009AF0: D3D84015 180001F1
	v_mul_f32_e32 v20, v15, v20                                // 000000009AF8: 0A28290F
	v_mul_f32_e32 v21, v15, v21                                // 000000009AFC: 0A2A2B0F
	v_accvgpr_write_b32 a240, v20                              // 000000009B00: D3D940F0 18000114
	v_accvgpr_write_b32 a241, v21                              // 000000009B08: D3D940F1 18000115
	v_accvgpr_read_b32 v20, a242                               // 000000009B10: D3D84014 180001F2
	v_accvgpr_read_b32 v21, a243                               // 000000009B18: D3D84015 180001F3
	v_mul_f32_e32 v20, v15, v20                                // 000000009B20: 0A28290F
	v_mul_f32_e32 v21, v15, v21                                // 000000009B24: 0A2A2B0F
	v_accvgpr_write_b32 a242, v20                              // 000000009B28: D3D940F2 18000114
	v_accvgpr_write_b32 a243, v21                              // 000000009B30: D3D940F3 18000115
	v_accvgpr_read_b32 v20, a244                               // 000000009B38: D3D84014 180001F4
	v_accvgpr_read_b32 v21, a245                               // 000000009B40: D3D84015 180001F5
	v_mul_f32_e32 v20, v15, v20                                // 000000009B48: 0A28290F
	v_mul_f32_e32 v21, v15, v21                                // 000000009B4C: 0A2A2B0F
	v_accvgpr_write_b32 a244, v20                              // 000000009B50: D3D940F4 18000114
	v_accvgpr_write_b32 a245, v21                              // 000000009B58: D3D940F5 18000115
	v_accvgpr_read_b32 v20, a246                               // 000000009B60: D3D84014 180001F6
	v_accvgpr_read_b32 v21, a247                               // 000000009B68: D3D84015 180001F7
	v_mul_f32_e32 v20, v15, v20                                // 000000009B70: 0A28290F
	v_mul_f32_e32 v21, v15, v21                                // 000000009B74: 0A2A2B0F
	v_accvgpr_write_b32 a246, v20                              // 000000009B78: D3D940F6 18000114
	v_accvgpr_write_b32 a247, v21                              // 000000009B80: D3D940F7 18000115
	v_accvgpr_read_b32 v20, a248                               // 000000009B88: D3D84014 180001F8
	v_accvgpr_read_b32 v21, a249                               // 000000009B90: D3D84015 180001F9
	v_mul_f32_e32 v20, v15, v20                                // 000000009B98: 0A28290F
	v_mul_f32_e32 v21, v15, v21                                // 000000009B9C: 0A2A2B0F
	v_accvgpr_write_b32 a248, v20                              // 000000009BA0: D3D940F8 18000114
	v_accvgpr_write_b32 a249, v21                              // 000000009BA8: D3D940F9 18000115
	v_accvgpr_read_b32 v20, a250                               // 000000009BB0: D3D84014 180001FA
	v_accvgpr_read_b32 v21, a251                               // 000000009BB8: D3D84015 180001FB
	v_mul_f32_e32 v20, v15, v20                                // 000000009BC0: 0A28290F
	v_mul_f32_e32 v21, v15, v21                                // 000000009BC4: 0A2A2B0F
	v_accvgpr_write_b32 a250, v20                              // 000000009BC8: D3D940FA 18000114
	v_accvgpr_write_b32 a251, v21                              // 000000009BD0: D3D940FB 18000115
	v_accvgpr_read_b32 v20, a252                               // 000000009BD8: D3D84014 180001FC
	v_accvgpr_read_b32 v21, a253                               // 000000009BE0: D3D84015 180001FD
	v_mul_f32_e32 v20, v15, v20                                // 000000009BE8: 0A28290F
	v_mul_f32_e32 v21, v15, v21                                // 000000009BEC: 0A2A2B0F
	v_accvgpr_write_b32 a252, v20                              // 000000009BF0: D3D940FC 18000114
	v_accvgpr_write_b32 a253, v21                              // 000000009BF8: D3D940FD 18000115
	v_accvgpr_read_b32 v20, a254                               // 000000009C00: D3D84014 180001FE
	v_accvgpr_read_b32 v21, a255                               // 000000009C08: D3D84015 180001FF
	v_mul_f32_e32 v20, v15, v20                                // 000000009C10: 0A28290F
	v_mul_f32_e32 v21, v15, v21                                // 000000009C14: 0A2A2B0F
	v_accvgpr_write_b32 a254, v20                              // 000000009C18: D3D940FE 18000114
	v_accvgpr_write_b32 a255, v21                              // 000000009C20: D3D940FF 18000115
	s_cmp_le_u32 s67, 1                                        // 000000009C28: BF0B8143
	s_cbranch_scc0 label_2CFA                                  // 000000009C2C: BF8409EE
	s_mul_i32 s75, 0x400, s65                                  // 000000009C30: 924B41FF 00000400
	s_mul_i32 s76, s67, s75                                    // 000000009C38: 924C4B43
	s_add_u32 s56, s80, s79                                    // 000000009C3C: 80384F50
	v_mov_b32_e32 v20, s56                                     // 000000009C40: 7E280238
	v_mul_lo_u32 v21, s76, v20                                 // 000000009C44: D2850015 0002284C
	v_mul_hi_u32 v22, s76, v20                                 // 000000009C4C: D2860016 0002284C
	s_nop 2                                                    // 000000009C54: BF800002
	v_readfirstlane_b32 s56, v21                               // 000000009C58: 7E700515
	v_readfirstlane_b32 s57, v22                               // 000000009C5C: 7E720516
	s_nop 4                                                    // 000000009C60: BF800004
	s_add_u32 s8, s56, s8                                      // 000000009C64: 80080838
	s_addc_u32 s9, s57, s9                                     // 000000009C68: 82090939
	s_sub_u32 s56, s81, s80                                    // 000000009C6C: 80B85051
	s_mul_i32 s56, s56, s76                                    // 000000009C70: 92384C38
	s_mov_b32 s10, s56                                         // 000000009C74: BE8A0038
	v_and_b32_e32 v20, 7, v0                                   // 000000009C78: 26280087
	v_lshlrev_b32_e32 v18, 4, v20                              // 000000009C7C: 24242884
	v_lshrrev_b32_e32 v20, 3, v0                               // 000000009C80: 20280083
	v_mul_i32_i24_e32 v20, 0x400, v20                          // 000000009C84: 0C2828FF 00000400
	v_add_u32_e32 v18, v18, v20                                // 000000009C8C: 68242912
	s_mul_i32 s56, s4, s75                                     // 000000009C90: 92384B04
	v_add_u32_e64 v18, v18, s56                                // 000000009C94: D1340012 00007112
	s_mul_i32 s56, s7, 0x4000                                  // 000000009C9C: 9238FF07 00004000
	v_add_u32_e64 v18, v18, s56                                // 000000009CA4: D1340012 00007112
	v_mov_b32_e32 v19, v18                                     // 000000009CAC: 7E260312
	s_waitcnt vmcnt(0) lgkmcnt(0)                              // 000000009CB0: BF8C0070
	s_barrier                                                  // 000000009CB4: BF8A0000
	s_mul_i32 s75, 0x400, s65                                  // 000000009CB8: 924B41FF 00000400
	s_mul_i32 s76, s67, s75                                    // 000000009CC0: 924C4B43
	v_lshrrev_b32_e32 v20, 4, v0                               // 000000009CC4: 20280084
	v_mul_i32_i24_e32 v5, 0x48, v20                            // 000000009CC8: 0C0A28FF 00000048
	v_and_b32_e32 v20, 15, v0                                  // 000000009CD0: 2628008F
	v_mul_i32_i24_e32 v20, 2, v20                              // 000000009CD4: 0C282882
	v_add_u32_e32 v5, v20, v5                                  // 000000009CD8: 680A0B14
	s_mul_i32 s56, s7, 0x480                                   // 000000009CDC: 9238FF07 00000480
	v_add_u32_e32 v5, s56, v5                                  // 000000009CE4: 680A0A38
	v_lshlrev_b32_e32 v5, 2, v5                                // 000000009CE8: 240A0A82
	v_lshrrev_b32_e32 v20, 3, v0                               // 000000009CEC: 20280083
	v_mul_i32_i24_e32 v4, 2, v20                               // 000000009CF0: 0C082882
	v_and_b32_e32 v20, 7, v0                                   // 000000009CF4: 26280087
	v_mul_i32_i24_e32 v20, 36, v20                             // 000000009CF8: 0C2828A4
	v_add_u32_e32 v4, v20, v4                                  // 000000009CFC: 68080914
	s_mul_i32 s56, s7, 0x480                                   // 000000009D00: 9238FF07 00000480
	v_add_u32_e32 v4, s56, v4                                  // 000000009D08: 68080838
	v_lshlrev_b32_e32 v4, 2, v4                                // 000000009D0C: 24080882
	v_mov_b32_e32 v29, 0xffff0000                              // 000000009D10: 7E3A02FF FFFF0000
	v_mov_b32_e32 v30, 0x7fff0000                              // 000000009D18: 7E3C02FF 7FFF0000
	v_mov_b32_e32 v31, 0x7fff                                  // 000000009D20: 7E3E02FF 00007FFF
	s_mov_b32 s56, 0                                           // 000000009D28: BEB80080
	v_add_u32_e64 v19, v19, s56                                // 000000009D2C: D1340013 00007113
	v_mov_b32_e32 v24, v40                                     // 000000009D34: 7E300328
	v_mov_b32_e32 v25, v44                                     // 000000009D38: 7E32032C
	v_mov_b32_e32 v26, v48                                     // 000000009D3C: 7E340330
	v_mov_b32_e32 v27, v52                                     // 000000009D40: 7E360334
	v_cmp_u_f32_e64 s[38:39], v24, v24                         // 000000009D44: D0480026 00023118
	v_add3_u32 v28, v24, v31, 1                                // 000000009D4C: D1FF001C 02063F18
	v_cndmask_b32_e64 v20, v28, v30, s[38:39]                  // 000000009D54: D1000014 009A3D1C
	v_cmp_u_f32_e64 s[38:39], v25, v25                         // 000000009D5C: D0480026 00023319
	v_add3_u32 v28, v25, v31, 1                                // 000000009D64: D1FF001C 02063F19
	v_cndmask_b32_e64 v21, v28, v30, s[38:39]                  // 000000009D6C: D1000015 009A3D1C
	v_perm_b32 v24, v21, v20, s52                              // 000000009D74: D1ED0018 00D22915
	v_cmp_u_f32_e64 s[38:39], v26, v26                         // 000000009D7C: D0480026 0002351A
	v_add3_u32 v28, v26, v31, 1                                // 000000009D84: D1FF001C 02063F1A
	v_cndmask_b32_e64 v20, v28, v30, s[38:39]                  // 000000009D8C: D1000014 009A3D1C
	v_cmp_u_f32_e64 s[38:39], v27, v27                         // 000000009D94: D0480026 0002371B
	v_add3_u32 v28, v27, v31, 1                                // 000000009D9C: D1FF001C 02063F1B
	v_cndmask_b32_e64 v21, v28, v30, s[38:39]                  // 000000009DA4: D1000015 009A3D1C
	v_perm_b32 v25, v21, v20, s52                              // 000000009DAC: D1ED0019 00D22915
	ds_write_b64 v5, v[24:25]                                  // 000000009DB4: D89A0000 00001805
	v_mov_b32_e32 v24, v41                                     // 000000009DBC: 7E300329
	v_mov_b32_e32 v25, v45                                     // 000000009DC0: 7E32032D
	v_mov_b32_e32 v26, v49                                     // 000000009DC4: 7E340331
	v_mov_b32_e32 v27, v53                                     // 000000009DC8: 7E360335
	v_cmp_u_f32_e64 s[38:39], v24, v24                         // 000000009DCC: D0480026 00023118
	v_add3_u32 v28, v24, v31, 1                                // 000000009DD4: D1FF001C 02063F18
	v_cndmask_b32_e64 v20, v28, v30, s[38:39]                  // 000000009DDC: D1000014 009A3D1C
	v_cmp_u_f32_e64 s[38:39], v25, v25                         // 000000009DE4: D0480026 00023319
	v_add3_u32 v28, v25, v31, 1                                // 000000009DEC: D1FF001C 02063F19
	v_cndmask_b32_e64 v21, v28, v30, s[38:39]                  // 000000009DF4: D1000015 009A3D1C
	v_perm_b32 v24, v21, v20, s52                              // 000000009DFC: D1ED0018 00D22915
	v_cmp_u_f32_e64 s[38:39], v26, v26                         // 000000009E04: D0480026 0002351A
	v_add3_u32 v28, v26, v31, 1                                // 000000009E0C: D1FF001C 02063F1A
	v_cndmask_b32_e64 v20, v28, v30, s[38:39]                  // 000000009E14: D1000014 009A3D1C
	v_cmp_u_f32_e64 s[38:39], v27, v27                         // 000000009E1C: D0480026 0002371B
	v_add3_u32 v28, v27, v31, 1                                // 000000009E24: D1FF001C 02063F1B
	v_cndmask_b32_e64 v21, v28, v30, s[38:39]                  // 000000009E2C: D1000015 009A3D1C
	v_perm_b32 v25, v21, v20, s52                              // 000000009E34: D1ED0019 00D22915
	ds_write_b64 v5, v[24:25] offset:1152                      // 000000009E3C: D89A0480 00001805
	v_mov_b32_e32 v24, v42                                     // 000000009E44: 7E30032A
	v_mov_b32_e32 v25, v46                                     // 000000009E48: 7E32032E
	v_mov_b32_e32 v26, v50                                     // 000000009E4C: 7E340332
	v_mov_b32_e32 v27, v54                                     // 000000009E50: 7E360336
	v_cmp_u_f32_e64 s[38:39], v24, v24                         // 000000009E54: D0480026 00023118
	v_add3_u32 v28, v24, v31, 1                                // 000000009E5C: D1FF001C 02063F18
	v_cndmask_b32_e64 v20, v28, v30, s[38:39]                  // 000000009E64: D1000014 009A3D1C
	v_cmp_u_f32_e64 s[38:39], v25, v25                         // 000000009E6C: D0480026 00023319
	v_add3_u32 v28, v25, v31, 1                                // 000000009E74: D1FF001C 02063F19
	v_cndmask_b32_e64 v21, v28, v30, s[38:39]                  // 000000009E7C: D1000015 009A3D1C
	v_perm_b32 v24, v21, v20, s52                              // 000000009E84: D1ED0018 00D22915
	v_cmp_u_f32_e64 s[38:39], v26, v26                         // 000000009E8C: D0480026 0002351A
	v_add3_u32 v28, v26, v31, 1                                // 000000009E94: D1FF001C 02063F1A
	v_cndmask_b32_e64 v20, v28, v30, s[38:39]                  // 000000009E9C: D1000014 009A3D1C
	v_cmp_u_f32_e64 s[38:39], v27, v27                         // 000000009EA4: D0480026 0002371B
	v_add3_u32 v28, v27, v31, 1                                // 000000009EAC: D1FF001C 02063F1B
	v_cndmask_b32_e64 v21, v28, v30, s[38:39]                  // 000000009EB4: D1000015 009A3D1C
	v_perm_b32 v25, v21, v20, s52                              // 000000009EBC: D1ED0019 00D22915
	ds_write_b64 v5, v[24:25] offset:144                       // 000000009EC4: D89A0090 00001805
	v_mov_b32_e32 v24, v43                                     // 000000009ECC: 7E30032B
	v_mov_b32_e32 v25, v47                                     // 000000009ED0: 7E32032F
	v_mov_b32_e32 v26, v51                                     // 000000009ED4: 7E340333
	v_mov_b32_e32 v27, v55                                     // 000000009ED8: 7E360337
	v_cmp_u_f32_e64 s[38:39], v24, v24                         // 000000009EDC: D0480026 00023118
	v_add3_u32 v28, v24, v31, 1                                // 000000009EE4: D1FF001C 02063F18
	v_cndmask_b32_e64 v20, v28, v30, s[38:39]                  // 000000009EEC: D1000014 009A3D1C
	v_cmp_u_f32_e64 s[38:39], v25, v25                         // 000000009EF4: D0480026 00023319
	v_add3_u32 v28, v25, v31, 1                                // 000000009EFC: D1FF001C 02063F19
	v_cndmask_b32_e64 v21, v28, v30, s[38:39]                  // 000000009F04: D1000015 009A3D1C
	v_perm_b32 v24, v21, v20, s52                              // 000000009F0C: D1ED0018 00D22915
	v_cmp_u_f32_e64 s[38:39], v26, v26                         // 000000009F14: D0480026 0002351A
	v_add3_u32 v28, v26, v31, 1                                // 000000009F1C: D1FF001C 02063F1A
	v_cndmask_b32_e64 v20, v28, v30, s[38:39]                  // 000000009F24: D1000014 009A3D1C
	v_cmp_u_f32_e64 s[38:39], v27, v27                         // 000000009F2C: D0480026 0002371B
	v_add3_u32 v28, v27, v31, 1                                // 000000009F34: D1FF001C 02063F1B
	v_cndmask_b32_e64 v21, v28, v30, s[38:39]                  // 000000009F3C: D1000015 009A3D1C
	v_perm_b32 v25, v21, v20, s52                              // 000000009F44: D1ED0019 00D22915
	ds_write_b64 v5, v[24:25] offset:1296                      // 000000009F4C: D89A0510 00001805
	v_mov_b32_e32 v24, v56                                     // 000000009F54: 7E300338
	v_mov_b32_e32 v25, v60                                     // 000000009F58: 7E32033C
	v_mov_b32_e32 v26, v64                                     // 000000009F5C: 7E340340
	v_mov_b32_e32 v27, v68                                     // 000000009F60: 7E360344
	v_cmp_u_f32_e64 s[38:39], v24, v24                         // 000000009F64: D0480026 00023118
	v_add3_u32 v28, v24, v31, 1                                // 000000009F6C: D1FF001C 02063F18
	v_cndmask_b32_e64 v20, v28, v30, s[38:39]                  // 000000009F74: D1000014 009A3D1C
	v_cmp_u_f32_e64 s[38:39], v25, v25                         // 000000009F7C: D0480026 00023319
	v_add3_u32 v28, v25, v31, 1                                // 000000009F84: D1FF001C 02063F19
	v_cndmask_b32_e64 v21, v28, v30, s[38:39]                  // 000000009F8C: D1000015 009A3D1C
	v_perm_b32 v24, v21, v20, s52                              // 000000009F94: D1ED0018 00D22915
	v_cmp_u_f32_e64 s[38:39], v26, v26                         // 000000009F9C: D0480026 0002351A
	v_add3_u32 v28, v26, v31, 1                                // 000000009FA4: D1FF001C 02063F1A
	v_cndmask_b32_e64 v20, v28, v30, s[38:39]                  // 000000009FAC: D1000014 009A3D1C
	v_cmp_u_f32_e64 s[38:39], v27, v27                         // 000000009FB4: D0480026 0002371B
	v_add3_u32 v28, v27, v31, 1                                // 000000009FBC: D1FF001C 02063F1B
	v_cndmask_b32_e64 v21, v28, v30, s[38:39]                  // 000000009FC4: D1000015 009A3D1C
	v_perm_b32 v25, v21, v20, s52                              // 000000009FCC: D1ED0019 00D22915
	ds_write_b64 v5, v[24:25] offset:2304                      // 000000009FD4: D89A0900 00001805
	v_mov_b32_e32 v24, v57                                     // 000000009FDC: 7E300339
	v_mov_b32_e32 v25, v61                                     // 000000009FE0: 7E32033D
	v_mov_b32_e32 v26, v65                                     // 000000009FE4: 7E340341
	v_mov_b32_e32 v27, v69                                     // 000000009FE8: 7E360345
	v_cmp_u_f32_e64 s[38:39], v24, v24                         // 000000009FEC: D0480026 00023118
	v_add3_u32 v28, v24, v31, 1                                // 000000009FF4: D1FF001C 02063F18
	v_cndmask_b32_e64 v20, v28, v30, s[38:39]                  // 000000009FFC: D1000014 009A3D1C
	v_cmp_u_f32_e64 s[38:39], v25, v25                         // 00000000A004: D0480026 00023319
	v_add3_u32 v28, v25, v31, 1                                // 00000000A00C: D1FF001C 02063F19
	v_cndmask_b32_e64 v21, v28, v30, s[38:39]                  // 00000000A014: D1000015 009A3D1C
	v_perm_b32 v24, v21, v20, s52                              // 00000000A01C: D1ED0018 00D22915
	v_cmp_u_f32_e64 s[38:39], v26, v26                         // 00000000A024: D0480026 0002351A
	v_add3_u32 v28, v26, v31, 1                                // 00000000A02C: D1FF001C 02063F1A
	v_cndmask_b32_e64 v20, v28, v30, s[38:39]                  // 00000000A034: D1000014 009A3D1C
	v_cmp_u_f32_e64 s[38:39], v27, v27                         // 00000000A03C: D0480026 0002371B
	v_add3_u32 v28, v27, v31, 1                                // 00000000A044: D1FF001C 02063F1B
	v_cndmask_b32_e64 v21, v28, v30, s[38:39]                  // 00000000A04C: D1000015 009A3D1C
	v_perm_b32 v25, v21, v20, s52                              // 00000000A054: D1ED0019 00D22915
	ds_write_b64 v5, v[24:25] offset:3456                      // 00000000A05C: D89A0D80 00001805
	v_mov_b32_e32 v24, v58                                     // 00000000A064: 7E30033A
	v_mov_b32_e32 v25, v62                                     // 00000000A068: 7E32033E
	v_mov_b32_e32 v26, v66                                     // 00000000A06C: 7E340342
	v_mov_b32_e32 v27, v70                                     // 00000000A070: 7E360346
	v_cmp_u_f32_e64 s[38:39], v24, v24                         // 00000000A074: D0480026 00023118
	v_add3_u32 v28, v24, v31, 1                                // 00000000A07C: D1FF001C 02063F18
	v_cndmask_b32_e64 v20, v28, v30, s[38:39]                  // 00000000A084: D1000014 009A3D1C
	v_cmp_u_f32_e64 s[38:39], v25, v25                         // 00000000A08C: D0480026 00023319
	v_add3_u32 v28, v25, v31, 1                                // 00000000A094: D1FF001C 02063F19
	v_cndmask_b32_e64 v21, v28, v30, s[38:39]                  // 00000000A09C: D1000015 009A3D1C
	v_perm_b32 v24, v21, v20, s52                              // 00000000A0A4: D1ED0018 00D22915
	v_cmp_u_f32_e64 s[38:39], v26, v26                         // 00000000A0AC: D0480026 0002351A
	v_add3_u32 v28, v26, v31, 1                                // 00000000A0B4: D1FF001C 02063F1A
	v_cndmask_b32_e64 v20, v28, v30, s[38:39]                  // 00000000A0BC: D1000014 009A3D1C
	v_cmp_u_f32_e64 s[38:39], v27, v27                         // 00000000A0C4: D0480026 0002371B
	v_add3_u32 v28, v27, v31, 1                                // 00000000A0CC: D1FF001C 02063F1B
	v_cndmask_b32_e64 v21, v28, v30, s[38:39]                  // 00000000A0D4: D1000015 009A3D1C
	v_perm_b32 v25, v21, v20, s52                              // 00000000A0DC: D1ED0019 00D22915
	ds_write_b64 v5, v[24:25] offset:2448                      // 00000000A0E4: D89A0990 00001805
	v_mov_b32_e32 v24, v59                                     // 00000000A0EC: 7E30033B
	v_mov_b32_e32 v25, v63                                     // 00000000A0F0: 7E32033F
	v_mov_b32_e32 v26, v67                                     // 00000000A0F4: 7E340343
	v_mov_b32_e32 v27, v71                                     // 00000000A0F8: 7E360347
	v_cmp_u_f32_e64 s[38:39], v24, v24                         // 00000000A0FC: D0480026 00023118
	v_add3_u32 v28, v24, v31, 1                                // 00000000A104: D1FF001C 02063F18
	v_cndmask_b32_e64 v20, v28, v30, s[38:39]                  // 00000000A10C: D1000014 009A3D1C
	v_cmp_u_f32_e64 s[38:39], v25, v25                         // 00000000A114: D0480026 00023319
	v_add3_u32 v28, v25, v31, 1                                // 00000000A11C: D1FF001C 02063F19
	v_cndmask_b32_e64 v21, v28, v30, s[38:39]                  // 00000000A124: D1000015 009A3D1C
	v_perm_b32 v24, v21, v20, s52                              // 00000000A12C: D1ED0018 00D22915
	v_cmp_u_f32_e64 s[38:39], v26, v26                         // 00000000A134: D0480026 0002351A
	v_add3_u32 v28, v26, v31, 1                                // 00000000A13C: D1FF001C 02063F1A
	v_cndmask_b32_e64 v20, v28, v30, s[38:39]                  // 00000000A144: D1000014 009A3D1C
	v_cmp_u_f32_e64 s[38:39], v27, v27                         // 00000000A14C: D0480026 0002371B
	v_add3_u32 v28, v27, v31, 1                                // 00000000A154: D1FF001C 02063F1B
	v_cndmask_b32_e64 v21, v28, v30, s[38:39]                  // 00000000A15C: D1000015 009A3D1C
	v_perm_b32 v25, v21, v20, s52                              // 00000000A164: D1ED0019 00D22915
	ds_write_b64 v5, v[24:25] offset:3600                      // 00000000A16C: D89A0E10 00001805
	s_waitcnt lgkmcnt(4)                                       // 00000000A174: BF8CC47F
	ds_read_b64 v[40:41], v4                                   // 00000000A178: D8EC0000 28000004
	ds_read_b64 v[44:45], v4 offset:64                         // 00000000A180: D8EC0040 2C000004
	ds_read_b64 v[42:43], v4 offset:1152                       // 00000000A188: D8EC0480 2A000004
	ds_read_b64 v[46:47], v4 offset:1216                       // 00000000A190: D8EC04C0 2E000004
	s_waitcnt lgkmcnt(4)                                       // 00000000A198: BF8CC47F
	ds_read_b64 v[48:49], v4 offset:2304                       // 00000000A19C: D8EC0900 30000004
	ds_read_b64 v[52:53], v4 offset:2368                       // 00000000A1A4: D8EC0940 34000004
	ds_read_b64 v[50:51], v4 offset:3456                       // 00000000A1AC: D8EC0D80 32000004
	ds_read_b64 v[54:55], v4 offset:3520                       // 00000000A1B4: D8EC0DC0 36000004
	s_waitcnt lgkmcnt(0)                                       // 00000000A1BC: BF8CC07F
	v_mov_b32_e32 v18, v19                                     // 00000000A1C0: 7E240313
	buffer_store_dwordx4 v[40:43], v18, s[8:11], 0 offen       // 00000000A1C4: E07C1000 80022812
	buffer_store_dwordx4 v[48:51], v18, s[8:11], 0 offen offset:128// 00000000A1CC: E07C1080 80023012
	v_add_u32_e32 v18, 0x2000, v18                             // 00000000A1D4: 682424FF 00002000
	buffer_store_dwordx4 v[44:47], v18, s[8:11], 0 offen       // 00000000A1DC: E07C1000 80022C12
	buffer_store_dwordx4 v[52:55], v18, s[8:11], 0 offen offset:128// 00000000A1E4: E07C1080 80023412
	v_add_u32_e32 v18, 0x2000, v18                             // 00000000A1EC: 682424FF 00002000
	v_mov_b32_e32 v24, v72                                     // 00000000A1F4: 7E300348
	v_mov_b32_e32 v25, v76                                     // 00000000A1F8: 7E32034C
	v_mov_b32_e32 v26, v80                                     // 00000000A1FC: 7E340350
	v_mov_b32_e32 v27, v84                                     // 00000000A200: 7E360354
	v_cmp_u_f32_e64 s[38:39], v24, v24                         // 00000000A204: D0480026 00023118
	v_add3_u32 v28, v24, v31, 1                                // 00000000A20C: D1FF001C 02063F18
	v_cndmask_b32_e64 v20, v28, v30, s[38:39]                  // 00000000A214: D1000014 009A3D1C
	v_cmp_u_f32_e64 s[38:39], v25, v25                         // 00000000A21C: D0480026 00023319
	v_add3_u32 v28, v25, v31, 1                                // 00000000A224: D1FF001C 02063F19
	v_cndmask_b32_e64 v21, v28, v30, s[38:39]                  // 00000000A22C: D1000015 009A3D1C
	v_perm_b32 v24, v21, v20, s52                              // 00000000A234: D1ED0018 00D22915
	v_cmp_u_f32_e64 s[38:39], v26, v26                         // 00000000A23C: D0480026 0002351A
	v_add3_u32 v28, v26, v31, 1                                // 00000000A244: D1FF001C 02063F1A
	v_cndmask_b32_e64 v20, v28, v30, s[38:39]                  // 00000000A24C: D1000014 009A3D1C
	v_cmp_u_f32_e64 s[38:39], v27, v27                         // 00000000A254: D0480026 0002371B
	v_add3_u32 v28, v27, v31, 1                                // 00000000A25C: D1FF001C 02063F1B
	v_cndmask_b32_e64 v21, v28, v30, s[38:39]                  // 00000000A264: D1000015 009A3D1C
	v_perm_b32 v25, v21, v20, s52                              // 00000000A26C: D1ED0019 00D22915
	ds_write_b64 v5, v[24:25]                                  // 00000000A274: D89A0000 00001805
	v_mov_b32_e32 v24, v73                                     // 00000000A27C: 7E300349
	v_mov_b32_e32 v25, v77                                     // 00000000A280: 7E32034D
	v_mov_b32_e32 v26, v81                                     // 00000000A284: 7E340351
	v_mov_b32_e32 v27, v85                                     // 00000000A288: 7E360355
	v_cmp_u_f32_e64 s[38:39], v24, v24                         // 00000000A28C: D0480026 00023118
	v_add3_u32 v28, v24, v31, 1                                // 00000000A294: D1FF001C 02063F18
	v_cndmask_b32_e64 v20, v28, v30, s[38:39]                  // 00000000A29C: D1000014 009A3D1C
	v_cmp_u_f32_e64 s[38:39], v25, v25                         // 00000000A2A4: D0480026 00023319
	v_add3_u32 v28, v25, v31, 1                                // 00000000A2AC: D1FF001C 02063F19
	v_cndmask_b32_e64 v21, v28, v30, s[38:39]                  // 00000000A2B4: D1000015 009A3D1C
	v_perm_b32 v24, v21, v20, s52                              // 00000000A2BC: D1ED0018 00D22915
	v_cmp_u_f32_e64 s[38:39], v26, v26                         // 00000000A2C4: D0480026 0002351A
	v_add3_u32 v28, v26, v31, 1                                // 00000000A2CC: D1FF001C 02063F1A
	v_cndmask_b32_e64 v20, v28, v30, s[38:39]                  // 00000000A2D4: D1000014 009A3D1C
	v_cmp_u_f32_e64 s[38:39], v27, v27                         // 00000000A2DC: D0480026 0002371B
	v_add3_u32 v28, v27, v31, 1                                // 00000000A2E4: D1FF001C 02063F1B
	v_cndmask_b32_e64 v21, v28, v30, s[38:39]                  // 00000000A2EC: D1000015 009A3D1C
	v_perm_b32 v25, v21, v20, s52                              // 00000000A2F4: D1ED0019 00D22915
	ds_write_b64 v5, v[24:25] offset:1152                      // 00000000A2FC: D89A0480 00001805
	v_mov_b32_e32 v24, v74                                     // 00000000A304: 7E30034A
	v_mov_b32_e32 v25, v78                                     // 00000000A308: 7E32034E
	v_mov_b32_e32 v26, v82                                     // 00000000A30C: 7E340352
	v_mov_b32_e32 v27, v86                                     // 00000000A310: 7E360356
	v_cmp_u_f32_e64 s[38:39], v24, v24                         // 00000000A314: D0480026 00023118
	v_add3_u32 v28, v24, v31, 1                                // 00000000A31C: D1FF001C 02063F18
	v_cndmask_b32_e64 v20, v28, v30, s[38:39]                  // 00000000A324: D1000014 009A3D1C
	v_cmp_u_f32_e64 s[38:39], v25, v25                         // 00000000A32C: D0480026 00023319
	v_add3_u32 v28, v25, v31, 1                                // 00000000A334: D1FF001C 02063F19
	v_cndmask_b32_e64 v21, v28, v30, s[38:39]                  // 00000000A33C: D1000015 009A3D1C
	v_perm_b32 v24, v21, v20, s52                              // 00000000A344: D1ED0018 00D22915
	v_cmp_u_f32_e64 s[38:39], v26, v26                         // 00000000A34C: D0480026 0002351A
	v_add3_u32 v28, v26, v31, 1                                // 00000000A354: D1FF001C 02063F1A
	v_cndmask_b32_e64 v20, v28, v30, s[38:39]                  // 00000000A35C: D1000014 009A3D1C
	v_cmp_u_f32_e64 s[38:39], v27, v27                         // 00000000A364: D0480026 0002371B
	v_add3_u32 v28, v27, v31, 1                                // 00000000A36C: D1FF001C 02063F1B
	v_cndmask_b32_e64 v21, v28, v30, s[38:39]                  // 00000000A374: D1000015 009A3D1C
	v_perm_b32 v25, v21, v20, s52                              // 00000000A37C: D1ED0019 00D22915
	ds_write_b64 v5, v[24:25] offset:144                       // 00000000A384: D89A0090 00001805
	v_mov_b32_e32 v24, v75                                     // 00000000A38C: 7E30034B
	v_mov_b32_e32 v25, v79                                     // 00000000A390: 7E32034F
	v_mov_b32_e32 v26, v83                                     // 00000000A394: 7E340353
	v_mov_b32_e32 v27, v87                                     // 00000000A398: 7E360357
	v_cmp_u_f32_e64 s[38:39], v24, v24                         // 00000000A39C: D0480026 00023118
	v_add3_u32 v28, v24, v31, 1                                // 00000000A3A4: D1FF001C 02063F18
	v_cndmask_b32_e64 v20, v28, v30, s[38:39]                  // 00000000A3AC: D1000014 009A3D1C
	v_cmp_u_f32_e64 s[38:39], v25, v25                         // 00000000A3B4: D0480026 00023319
	v_add3_u32 v28, v25, v31, 1                                // 00000000A3BC: D1FF001C 02063F19
	v_cndmask_b32_e64 v21, v28, v30, s[38:39]                  // 00000000A3C4: D1000015 009A3D1C
	v_perm_b32 v24, v21, v20, s52                              // 00000000A3CC: D1ED0018 00D22915
	v_cmp_u_f32_e64 s[38:39], v26, v26                         // 00000000A3D4: D0480026 0002351A
	v_add3_u32 v28, v26, v31, 1                                // 00000000A3DC: D1FF001C 02063F1A
	v_cndmask_b32_e64 v20, v28, v30, s[38:39]                  // 00000000A3E4: D1000014 009A3D1C
	v_cmp_u_f32_e64 s[38:39], v27, v27                         // 00000000A3EC: D0480026 0002371B
	v_add3_u32 v28, v27, v31, 1                                // 00000000A3F4: D1FF001C 02063F1B
	v_cndmask_b32_e64 v21, v28, v30, s[38:39]                  // 00000000A3FC: D1000015 009A3D1C
	v_perm_b32 v25, v21, v20, s52                              // 00000000A404: D1ED0019 00D22915
	ds_write_b64 v5, v[24:25] offset:1296                      // 00000000A40C: D89A0510 00001805
	v_mov_b32_e32 v24, v88                                     // 00000000A414: 7E300358
	v_mov_b32_e32 v25, v92                                     // 00000000A418: 7E32035C
	v_mov_b32_e32 v26, v96                                     // 00000000A41C: 7E340360
	v_mov_b32_e32 v27, v100                                    // 00000000A420: 7E360364
	v_cmp_u_f32_e64 s[38:39], v24, v24                         // 00000000A424: D0480026 00023118
	v_add3_u32 v28, v24, v31, 1                                // 00000000A42C: D1FF001C 02063F18
	v_cndmask_b32_e64 v20, v28, v30, s[38:39]                  // 00000000A434: D1000014 009A3D1C
	v_cmp_u_f32_e64 s[38:39], v25, v25                         // 00000000A43C: D0480026 00023319
	v_add3_u32 v28, v25, v31, 1                                // 00000000A444: D1FF001C 02063F19
	v_cndmask_b32_e64 v21, v28, v30, s[38:39]                  // 00000000A44C: D1000015 009A3D1C
	v_perm_b32 v24, v21, v20, s52                              // 00000000A454: D1ED0018 00D22915
	v_cmp_u_f32_e64 s[38:39], v26, v26                         // 00000000A45C: D0480026 0002351A
	v_add3_u32 v28, v26, v31, 1                                // 00000000A464: D1FF001C 02063F1A
	v_cndmask_b32_e64 v20, v28, v30, s[38:39]                  // 00000000A46C: D1000014 009A3D1C
	v_cmp_u_f32_e64 s[38:39], v27, v27                         // 00000000A474: D0480026 0002371B
	v_add3_u32 v28, v27, v31, 1                                // 00000000A47C: D1FF001C 02063F1B
	v_cndmask_b32_e64 v21, v28, v30, s[38:39]                  // 00000000A484: D1000015 009A3D1C
	v_perm_b32 v25, v21, v20, s52                              // 00000000A48C: D1ED0019 00D22915
	ds_write_b64 v5, v[24:25] offset:2304                      // 00000000A494: D89A0900 00001805
	v_mov_b32_e32 v24, v89                                     // 00000000A49C: 7E300359
	v_mov_b32_e32 v25, v93                                     // 00000000A4A0: 7E32035D
	v_mov_b32_e32 v26, v97                                     // 00000000A4A4: 7E340361
	v_mov_b32_e32 v27, v101                                    // 00000000A4A8: 7E360365
	v_cmp_u_f32_e64 s[38:39], v24, v24                         // 00000000A4AC: D0480026 00023118
	v_add3_u32 v28, v24, v31, 1                                // 00000000A4B4: D1FF001C 02063F18
	v_cndmask_b32_e64 v20, v28, v30, s[38:39]                  // 00000000A4BC: D1000014 009A3D1C
	v_cmp_u_f32_e64 s[38:39], v25, v25                         // 00000000A4C4: D0480026 00023319
	v_add3_u32 v28, v25, v31, 1                                // 00000000A4CC: D1FF001C 02063F19
	v_cndmask_b32_e64 v21, v28, v30, s[38:39]                  // 00000000A4D4: D1000015 009A3D1C
	v_perm_b32 v24, v21, v20, s52                              // 00000000A4DC: D1ED0018 00D22915
	v_cmp_u_f32_e64 s[38:39], v26, v26                         // 00000000A4E4: D0480026 0002351A
	v_add3_u32 v28, v26, v31, 1                                // 00000000A4EC: D1FF001C 02063F1A
	v_cndmask_b32_e64 v20, v28, v30, s[38:39]                  // 00000000A4F4: D1000014 009A3D1C
	v_cmp_u_f32_e64 s[38:39], v27, v27                         // 00000000A4FC: D0480026 0002371B
	v_add3_u32 v28, v27, v31, 1                                // 00000000A504: D1FF001C 02063F1B
	v_cndmask_b32_e64 v21, v28, v30, s[38:39]                  // 00000000A50C: D1000015 009A3D1C
	v_perm_b32 v25, v21, v20, s52                              // 00000000A514: D1ED0019 00D22915
	ds_write_b64 v5, v[24:25] offset:3456                      // 00000000A51C: D89A0D80 00001805
	v_mov_b32_e32 v24, v90                                     // 00000000A524: 7E30035A
	v_mov_b32_e32 v25, v94                                     // 00000000A528: 7E32035E
	v_mov_b32_e32 v26, v98                                     // 00000000A52C: 7E340362
	v_mov_b32_e32 v27, v102                                    // 00000000A530: 7E360366
	v_cmp_u_f32_e64 s[38:39], v24, v24                         // 00000000A534: D0480026 00023118
	v_add3_u32 v28, v24, v31, 1                                // 00000000A53C: D1FF001C 02063F18
	v_cndmask_b32_e64 v20, v28, v30, s[38:39]                  // 00000000A544: D1000014 009A3D1C
	v_cmp_u_f32_e64 s[38:39], v25, v25                         // 00000000A54C: D0480026 00023319
	v_add3_u32 v28, v25, v31, 1                                // 00000000A554: D1FF001C 02063F19
	v_cndmask_b32_e64 v21, v28, v30, s[38:39]                  // 00000000A55C: D1000015 009A3D1C
	v_perm_b32 v24, v21, v20, s52                              // 00000000A564: D1ED0018 00D22915
	v_cmp_u_f32_e64 s[38:39], v26, v26                         // 00000000A56C: D0480026 0002351A
	v_add3_u32 v28, v26, v31, 1                                // 00000000A574: D1FF001C 02063F1A
	v_cndmask_b32_e64 v20, v28, v30, s[38:39]                  // 00000000A57C: D1000014 009A3D1C
	v_cmp_u_f32_e64 s[38:39], v27, v27                         // 00000000A584: D0480026 0002371B
	v_add3_u32 v28, v27, v31, 1                                // 00000000A58C: D1FF001C 02063F1B
	v_cndmask_b32_e64 v21, v28, v30, s[38:39]                  // 00000000A594: D1000015 009A3D1C
	v_perm_b32 v25, v21, v20, s52                              // 00000000A59C: D1ED0019 00D22915
	ds_write_b64 v5, v[24:25] offset:2448                      // 00000000A5A4: D89A0990 00001805
	v_mov_b32_e32 v24, v91                                     // 00000000A5AC: 7E30035B
	v_mov_b32_e32 v25, v95                                     // 00000000A5B0: 7E32035F
	v_mov_b32_e32 v26, v99                                     // 00000000A5B4: 7E340363
	v_mov_b32_e32 v27, v103                                    // 00000000A5B8: 7E360367
	v_cmp_u_f32_e64 s[38:39], v24, v24                         // 00000000A5BC: D0480026 00023118
	v_add3_u32 v28, v24, v31, 1                                // 00000000A5C4: D1FF001C 02063F18
	v_cndmask_b32_e64 v20, v28, v30, s[38:39]                  // 00000000A5CC: D1000014 009A3D1C
	v_cmp_u_f32_e64 s[38:39], v25, v25                         // 00000000A5D4: D0480026 00023319
	v_add3_u32 v28, v25, v31, 1                                // 00000000A5DC: D1FF001C 02063F19
	v_cndmask_b32_e64 v21, v28, v30, s[38:39]                  // 00000000A5E4: D1000015 009A3D1C
	v_perm_b32 v24, v21, v20, s52                              // 00000000A5EC: D1ED0018 00D22915
	v_cmp_u_f32_e64 s[38:39], v26, v26                         // 00000000A5F4: D0480026 0002351A
	v_add3_u32 v28, v26, v31, 1                                // 00000000A5FC: D1FF001C 02063F1A
	v_cndmask_b32_e64 v20, v28, v30, s[38:39]                  // 00000000A604: D1000014 009A3D1C
	v_cmp_u_f32_e64 s[38:39], v27, v27                         // 00000000A60C: D0480026 0002371B
	v_add3_u32 v28, v27, v31, 1                                // 00000000A614: D1FF001C 02063F1B
	v_cndmask_b32_e64 v21, v28, v30, s[38:39]                  // 00000000A61C: D1000015 009A3D1C
	v_perm_b32 v25, v21, v20, s52                              // 00000000A624: D1ED0019 00D22915
	ds_write_b64 v5, v[24:25] offset:3600                      // 00000000A62C: D89A0E10 00001805
	s_waitcnt lgkmcnt(4)                                       // 00000000A634: BF8CC47F
	ds_read_b64 v[40:41], v4                                   // 00000000A638: D8EC0000 28000004
	ds_read_b64 v[44:45], v4 offset:64                         // 00000000A640: D8EC0040 2C000004
	ds_read_b64 v[42:43], v4 offset:1152                       // 00000000A648: D8EC0480 2A000004
	ds_read_b64 v[46:47], v4 offset:1216                       // 00000000A650: D8EC04C0 2E000004
	s_waitcnt lgkmcnt(4)                                       // 00000000A658: BF8CC47F
	ds_read_b64 v[48:49], v4 offset:2304                       // 00000000A65C: D8EC0900 30000004
	ds_read_b64 v[52:53], v4 offset:2368                       // 00000000A664: D8EC0940 34000004
	ds_read_b64 v[50:51], v4 offset:3456                       // 00000000A66C: D8EC0D80 32000004
	ds_read_b64 v[54:55], v4 offset:3520                       // 00000000A674: D8EC0DC0 36000004
	s_waitcnt lgkmcnt(0)                                       // 00000000A67C: BF8CC07F
	v_mov_b32_e32 v18, v19                                     // 00000000A680: 7E240313
	buffer_store_dwordx4 v[40:43], v18, s[8:11], 0 offen offset:256// 00000000A684: E07C1100 80022812
	buffer_store_dwordx4 v[48:51], v18, s[8:11], 0 offen offset:384// 00000000A68C: E07C1180 80023012
	v_add_u32_e32 v18, 0x2000, v18                             // 00000000A694: 682424FF 00002000
	buffer_store_dwordx4 v[44:47], v18, s[8:11], 0 offen offset:256// 00000000A69C: E07C1100 80022C12
	buffer_store_dwordx4 v[52:55], v18, s[8:11], 0 offen offset:384// 00000000A6A4: E07C1180 80023412
	v_add_u32_e32 v18, 0x2000, v18                             // 00000000A6AC: 682424FF 00002000
	v_mov_b32_e32 v24, v104                                    // 00000000A6B4: 7E300368
	v_mov_b32_e32 v25, v108                                    // 00000000A6B8: 7E32036C
	v_mov_b32_e32 v26, v112                                    // 00000000A6BC: 7E340370
	v_mov_b32_e32 v27, v116                                    // 00000000A6C0: 7E360374
	v_cmp_u_f32_e64 s[38:39], v24, v24                         // 00000000A6C4: D0480026 00023118
	v_add3_u32 v28, v24, v31, 1                                // 00000000A6CC: D1FF001C 02063F18
	v_cndmask_b32_e64 v20, v28, v30, s[38:39]                  // 00000000A6D4: D1000014 009A3D1C
	v_cmp_u_f32_e64 s[38:39], v25, v25                         // 00000000A6DC: D0480026 00023319
	v_add3_u32 v28, v25, v31, 1                                // 00000000A6E4: D1FF001C 02063F19
	v_cndmask_b32_e64 v21, v28, v30, s[38:39]                  // 00000000A6EC: D1000015 009A3D1C
	v_perm_b32 v24, v21, v20, s52                              // 00000000A6F4: D1ED0018 00D22915
	v_cmp_u_f32_e64 s[38:39], v26, v26                         // 00000000A6FC: D0480026 0002351A
	v_add3_u32 v28, v26, v31, 1                                // 00000000A704: D1FF001C 02063F1A
	v_cndmask_b32_e64 v20, v28, v30, s[38:39]                  // 00000000A70C: D1000014 009A3D1C
	v_cmp_u_f32_e64 s[38:39], v27, v27                         // 00000000A714: D0480026 0002371B
	v_add3_u32 v28, v27, v31, 1                                // 00000000A71C: D1FF001C 02063F1B
	v_cndmask_b32_e64 v21, v28, v30, s[38:39]                  // 00000000A724: D1000015 009A3D1C
	v_perm_b32 v25, v21, v20, s52                              // 00000000A72C: D1ED0019 00D22915
	ds_write_b64 v5, v[24:25]                                  // 00000000A734: D89A0000 00001805
	v_mov_b32_e32 v24, v105                                    // 00000000A73C: 7E300369
	v_mov_b32_e32 v25, v109                                    // 00000000A740: 7E32036D
	v_mov_b32_e32 v26, v113                                    // 00000000A744: 7E340371
	v_mov_b32_e32 v27, v117                                    // 00000000A748: 7E360375
	v_cmp_u_f32_e64 s[38:39], v24, v24                         // 00000000A74C: D0480026 00023118
	v_add3_u32 v28, v24, v31, 1                                // 00000000A754: D1FF001C 02063F18
	v_cndmask_b32_e64 v20, v28, v30, s[38:39]                  // 00000000A75C: D1000014 009A3D1C
	v_cmp_u_f32_e64 s[38:39], v25, v25                         // 00000000A764: D0480026 00023319
	v_add3_u32 v28, v25, v31, 1                                // 00000000A76C: D1FF001C 02063F19
	v_cndmask_b32_e64 v21, v28, v30, s[38:39]                  // 00000000A774: D1000015 009A3D1C
	v_perm_b32 v24, v21, v20, s52                              // 00000000A77C: D1ED0018 00D22915
	v_cmp_u_f32_e64 s[38:39], v26, v26                         // 00000000A784: D0480026 0002351A
	v_add3_u32 v28, v26, v31, 1                                // 00000000A78C: D1FF001C 02063F1A
	v_cndmask_b32_e64 v20, v28, v30, s[38:39]                  // 00000000A794: D1000014 009A3D1C
	v_cmp_u_f32_e64 s[38:39], v27, v27                         // 00000000A79C: D0480026 0002371B
	v_add3_u32 v28, v27, v31, 1                                // 00000000A7A4: D1FF001C 02063F1B
	v_cndmask_b32_e64 v21, v28, v30, s[38:39]                  // 00000000A7AC: D1000015 009A3D1C
	v_perm_b32 v25, v21, v20, s52                              // 00000000A7B4: D1ED0019 00D22915
	ds_write_b64 v5, v[24:25] offset:1152                      // 00000000A7BC: D89A0480 00001805
	v_mov_b32_e32 v24, v106                                    // 00000000A7C4: 7E30036A
	v_mov_b32_e32 v25, v110                                    // 00000000A7C8: 7E32036E
	v_mov_b32_e32 v26, v114                                    // 00000000A7CC: 7E340372
	v_mov_b32_e32 v27, v118                                    // 00000000A7D0: 7E360376
	v_cmp_u_f32_e64 s[38:39], v24, v24                         // 00000000A7D4: D0480026 00023118
	v_add3_u32 v28, v24, v31, 1                                // 00000000A7DC: D1FF001C 02063F18
	v_cndmask_b32_e64 v20, v28, v30, s[38:39]                  // 00000000A7E4: D1000014 009A3D1C
	v_cmp_u_f32_e64 s[38:39], v25, v25                         // 00000000A7EC: D0480026 00023319
	v_add3_u32 v28, v25, v31, 1                                // 00000000A7F4: D1FF001C 02063F19
	v_cndmask_b32_e64 v21, v28, v30, s[38:39]                  // 00000000A7FC: D1000015 009A3D1C
	v_perm_b32 v24, v21, v20, s52                              // 00000000A804: D1ED0018 00D22915
	v_cmp_u_f32_e64 s[38:39], v26, v26                         // 00000000A80C: D0480026 0002351A
	v_add3_u32 v28, v26, v31, 1                                // 00000000A814: D1FF001C 02063F1A
	v_cndmask_b32_e64 v20, v28, v30, s[38:39]                  // 00000000A81C: D1000014 009A3D1C
	v_cmp_u_f32_e64 s[38:39], v27, v27                         // 00000000A824: D0480026 0002371B
	v_add3_u32 v28, v27, v31, 1                                // 00000000A82C: D1FF001C 02063F1B
	v_cndmask_b32_e64 v21, v28, v30, s[38:39]                  // 00000000A834: D1000015 009A3D1C
	v_perm_b32 v25, v21, v20, s52                              // 00000000A83C: D1ED0019 00D22915
	ds_write_b64 v5, v[24:25] offset:144                       // 00000000A844: D89A0090 00001805
	v_mov_b32_e32 v24, v107                                    // 00000000A84C: 7E30036B
	v_mov_b32_e32 v25, v111                                    // 00000000A850: 7E32036F
	v_mov_b32_e32 v26, v115                                    // 00000000A854: 7E340373
	v_mov_b32_e32 v27, v119                                    // 00000000A858: 7E360377
	v_cmp_u_f32_e64 s[38:39], v24, v24                         // 00000000A85C: D0480026 00023118
	v_add3_u32 v28, v24, v31, 1                                // 00000000A864: D1FF001C 02063F18
	v_cndmask_b32_e64 v20, v28, v30, s[38:39]                  // 00000000A86C: D1000014 009A3D1C
	v_cmp_u_f32_e64 s[38:39], v25, v25                         // 00000000A874: D0480026 00023319
	v_add3_u32 v28, v25, v31, 1                                // 00000000A87C: D1FF001C 02063F19
	v_cndmask_b32_e64 v21, v28, v30, s[38:39]                  // 00000000A884: D1000015 009A3D1C
	v_perm_b32 v24, v21, v20, s52                              // 00000000A88C: D1ED0018 00D22915
	v_cmp_u_f32_e64 s[38:39], v26, v26                         // 00000000A894: D0480026 0002351A
	v_add3_u32 v28, v26, v31, 1                                // 00000000A89C: D1FF001C 02063F1A
	v_cndmask_b32_e64 v20, v28, v30, s[38:39]                  // 00000000A8A4: D1000014 009A3D1C
	v_cmp_u_f32_e64 s[38:39], v27, v27                         // 00000000A8AC: D0480026 0002371B
	v_add3_u32 v28, v27, v31, 1                                // 00000000A8B4: D1FF001C 02063F1B
	v_cndmask_b32_e64 v21, v28, v30, s[38:39]                  // 00000000A8BC: D1000015 009A3D1C
	v_perm_b32 v25, v21, v20, s52                              // 00000000A8C4: D1ED0019 00D22915
	ds_write_b64 v5, v[24:25] offset:1296                      // 00000000A8CC: D89A0510 00001805
	v_mov_b32_e32 v24, v120                                    // 00000000A8D4: 7E300378
	v_mov_b32_e32 v25, v124                                    // 00000000A8D8: 7E32037C
	v_mov_b32_e32 v26, v128                                    // 00000000A8DC: 7E340380
	v_mov_b32_e32 v27, v132                                    // 00000000A8E0: 7E360384
	v_cmp_u_f32_e64 s[38:39], v24, v24                         // 00000000A8E4: D0480026 00023118
	v_add3_u32 v28, v24, v31, 1                                // 00000000A8EC: D1FF001C 02063F18
	v_cndmask_b32_e64 v20, v28, v30, s[38:39]                  // 00000000A8F4: D1000014 009A3D1C
	v_cmp_u_f32_e64 s[38:39], v25, v25                         // 00000000A8FC: D0480026 00023319
	v_add3_u32 v28, v25, v31, 1                                // 00000000A904: D1FF001C 02063F19
	v_cndmask_b32_e64 v21, v28, v30, s[38:39]                  // 00000000A90C: D1000015 009A3D1C
	v_perm_b32 v24, v21, v20, s52                              // 00000000A914: D1ED0018 00D22915
	v_cmp_u_f32_e64 s[38:39], v26, v26                         // 00000000A91C: D0480026 0002351A
	v_add3_u32 v28, v26, v31, 1                                // 00000000A924: D1FF001C 02063F1A
	v_cndmask_b32_e64 v20, v28, v30, s[38:39]                  // 00000000A92C: D1000014 009A3D1C
	v_cmp_u_f32_e64 s[38:39], v27, v27                         // 00000000A934: D0480026 0002371B
	v_add3_u32 v28, v27, v31, 1                                // 00000000A93C: D1FF001C 02063F1B
	v_cndmask_b32_e64 v21, v28, v30, s[38:39]                  // 00000000A944: D1000015 009A3D1C
	v_perm_b32 v25, v21, v20, s52                              // 00000000A94C: D1ED0019 00D22915
	ds_write_b64 v5, v[24:25] offset:2304                      // 00000000A954: D89A0900 00001805
	v_mov_b32_e32 v24, v121                                    // 00000000A95C: 7E300379
	v_mov_b32_e32 v25, v125                                    // 00000000A960: 7E32037D
	v_mov_b32_e32 v26, v129                                    // 00000000A964: 7E340381
	v_mov_b32_e32 v27, v133                                    // 00000000A968: 7E360385
	v_cmp_u_f32_e64 s[38:39], v24, v24                         // 00000000A96C: D0480026 00023118
	v_add3_u32 v28, v24, v31, 1                                // 00000000A974: D1FF001C 02063F18
	v_cndmask_b32_e64 v20, v28, v30, s[38:39]                  // 00000000A97C: D1000014 009A3D1C
	v_cmp_u_f32_e64 s[38:39], v25, v25                         // 00000000A984: D0480026 00023319
	v_add3_u32 v28, v25, v31, 1                                // 00000000A98C: D1FF001C 02063F19
	v_cndmask_b32_e64 v21, v28, v30, s[38:39]                  // 00000000A994: D1000015 009A3D1C
	v_perm_b32 v24, v21, v20, s52                              // 00000000A99C: D1ED0018 00D22915
	v_cmp_u_f32_e64 s[38:39], v26, v26                         // 00000000A9A4: D0480026 0002351A
	v_add3_u32 v28, v26, v31, 1                                // 00000000A9AC: D1FF001C 02063F1A
	v_cndmask_b32_e64 v20, v28, v30, s[38:39]                  // 00000000A9B4: D1000014 009A3D1C
	v_cmp_u_f32_e64 s[38:39], v27, v27                         // 00000000A9BC: D0480026 0002371B
	v_add3_u32 v28, v27, v31, 1                                // 00000000A9C4: D1FF001C 02063F1B
	v_cndmask_b32_e64 v21, v28, v30, s[38:39]                  // 00000000A9CC: D1000015 009A3D1C
	v_perm_b32 v25, v21, v20, s52                              // 00000000A9D4: D1ED0019 00D22915
	ds_write_b64 v5, v[24:25] offset:3456                      // 00000000A9DC: D89A0D80 00001805
	v_mov_b32_e32 v24, v122                                    // 00000000A9E4: 7E30037A
	v_mov_b32_e32 v25, v126                                    // 00000000A9E8: 7E32037E
	v_mov_b32_e32 v26, v130                                    // 00000000A9EC: 7E340382
	v_mov_b32_e32 v27, v134                                    // 00000000A9F0: 7E360386
	v_cmp_u_f32_e64 s[38:39], v24, v24                         // 00000000A9F4: D0480026 00023118
	v_add3_u32 v28, v24, v31, 1                                // 00000000A9FC: D1FF001C 02063F18
	v_cndmask_b32_e64 v20, v28, v30, s[38:39]                  // 00000000AA04: D1000014 009A3D1C
	v_cmp_u_f32_e64 s[38:39], v25, v25                         // 00000000AA0C: D0480026 00023319
	v_add3_u32 v28, v25, v31, 1                                // 00000000AA14: D1FF001C 02063F19
	v_cndmask_b32_e64 v21, v28, v30, s[38:39]                  // 00000000AA1C: D1000015 009A3D1C
	v_perm_b32 v24, v21, v20, s52                              // 00000000AA24: D1ED0018 00D22915
	v_cmp_u_f32_e64 s[38:39], v26, v26                         // 00000000AA2C: D0480026 0002351A
	v_add3_u32 v28, v26, v31, 1                                // 00000000AA34: D1FF001C 02063F1A
	v_cndmask_b32_e64 v20, v28, v30, s[38:39]                  // 00000000AA3C: D1000014 009A3D1C
	v_cmp_u_f32_e64 s[38:39], v27, v27                         // 00000000AA44: D0480026 0002371B
	v_add3_u32 v28, v27, v31, 1                                // 00000000AA4C: D1FF001C 02063F1B
	v_cndmask_b32_e64 v21, v28, v30, s[38:39]                  // 00000000AA54: D1000015 009A3D1C
	v_perm_b32 v25, v21, v20, s52                              // 00000000AA5C: D1ED0019 00D22915
	ds_write_b64 v5, v[24:25] offset:2448                      // 00000000AA64: D89A0990 00001805
	v_mov_b32_e32 v24, v123                                    // 00000000AA6C: 7E30037B
	v_mov_b32_e32 v25, v127                                    // 00000000AA70: 7E32037F
	v_mov_b32_e32 v26, v131                                    // 00000000AA74: 7E340383
	v_mov_b32_e32 v27, v135                                    // 00000000AA78: 7E360387
	v_cmp_u_f32_e64 s[38:39], v24, v24                         // 00000000AA7C: D0480026 00023118
	v_add3_u32 v28, v24, v31, 1                                // 00000000AA84: D1FF001C 02063F18
	v_cndmask_b32_e64 v20, v28, v30, s[38:39]                  // 00000000AA8C: D1000014 009A3D1C
	v_cmp_u_f32_e64 s[38:39], v25, v25                         // 00000000AA94: D0480026 00023319
	v_add3_u32 v28, v25, v31, 1                                // 00000000AA9C: D1FF001C 02063F19
	v_cndmask_b32_e64 v21, v28, v30, s[38:39]                  // 00000000AAA4: D1000015 009A3D1C
	v_perm_b32 v24, v21, v20, s52                              // 00000000AAAC: D1ED0018 00D22915
	v_cmp_u_f32_e64 s[38:39], v26, v26                         // 00000000AAB4: D0480026 0002351A
	v_add3_u32 v28, v26, v31, 1                                // 00000000AABC: D1FF001C 02063F1A
	v_cndmask_b32_e64 v20, v28, v30, s[38:39]                  // 00000000AAC4: D1000014 009A3D1C
	v_cmp_u_f32_e64 s[38:39], v27, v27                         // 00000000AACC: D0480026 0002371B
	v_add3_u32 v28, v27, v31, 1                                // 00000000AAD4: D1FF001C 02063F1B
	v_cndmask_b32_e64 v21, v28, v30, s[38:39]                  // 00000000AADC: D1000015 009A3D1C
	v_perm_b32 v25, v21, v20, s52                              // 00000000AAE4: D1ED0019 00D22915
	ds_write_b64 v5, v[24:25] offset:3600                      // 00000000AAEC: D89A0E10 00001805
	s_waitcnt lgkmcnt(4)                                       // 00000000AAF4: BF8CC47F
	ds_read_b64 v[40:41], v4                                   // 00000000AAF8: D8EC0000 28000004
	ds_read_b64 v[44:45], v4 offset:64                         // 00000000AB00: D8EC0040 2C000004
	ds_read_b64 v[42:43], v4 offset:1152                       // 00000000AB08: D8EC0480 2A000004
	ds_read_b64 v[46:47], v4 offset:1216                       // 00000000AB10: D8EC04C0 2E000004
	s_waitcnt lgkmcnt(4)                                       // 00000000AB18: BF8CC47F
	ds_read_b64 v[48:49], v4 offset:2304                       // 00000000AB1C: D8EC0900 30000004
	ds_read_b64 v[52:53], v4 offset:2368                       // 00000000AB24: D8EC0940 34000004
	ds_read_b64 v[50:51], v4 offset:3456                       // 00000000AB2C: D8EC0D80 32000004
	ds_read_b64 v[54:55], v4 offset:3520                       // 00000000AB34: D8EC0DC0 36000004
	s_waitcnt lgkmcnt(0)                                       // 00000000AB3C: BF8CC07F
	v_mov_b32_e32 v18, v19                                     // 00000000AB40: 7E240313
	buffer_store_dwordx4 v[40:43], v18, s[8:11], 0 offen offset:512// 00000000AB44: E07C1200 80022812
	buffer_store_dwordx4 v[48:51], v18, s[8:11], 0 offen offset:640// 00000000AB4C: E07C1280 80023012
	v_add_u32_e32 v18, 0x2000, v18                             // 00000000AB54: 682424FF 00002000
	buffer_store_dwordx4 v[44:47], v18, s[8:11], 0 offen offset:512// 00000000AB5C: E07C1200 80022C12
	buffer_store_dwordx4 v[52:55], v18, s[8:11], 0 offen offset:640// 00000000AB64: E07C1280 80023412
	v_add_u32_e32 v18, 0x2000, v18                             // 00000000AB6C: 682424FF 00002000
	v_mov_b32_e32 v24, v136                                    // 00000000AB74: 7E300388
	v_mov_b32_e32 v25, v140                                    // 00000000AB78: 7E32038C
	v_mov_b32_e32 v26, v144                                    // 00000000AB7C: 7E340390
	v_accvgpr_read_b32 v27, a216                               // 00000000AB80: D3D8401B 180001D8
	v_cmp_u_f32_e64 s[38:39], v24, v24                         // 00000000AB88: D0480026 00023118
	v_add3_u32 v28, v24, v31, 1                                // 00000000AB90: D1FF001C 02063F18
	v_cndmask_b32_e64 v20, v28, v30, s[38:39]                  // 00000000AB98: D1000014 009A3D1C
	v_cmp_u_f32_e64 s[38:39], v25, v25                         // 00000000ABA0: D0480026 00023319
	v_add3_u32 v28, v25, v31, 1                                // 00000000ABA8: D1FF001C 02063F19
	v_cndmask_b32_e64 v21, v28, v30, s[38:39]                  // 00000000ABB0: D1000015 009A3D1C
	v_perm_b32 v24, v21, v20, s52                              // 00000000ABB8: D1ED0018 00D22915
	v_cmp_u_f32_e64 s[38:39], v26, v26                         // 00000000ABC0: D0480026 0002351A
	v_add3_u32 v28, v26, v31, 1                                // 00000000ABC8: D1FF001C 02063F1A
	v_cndmask_b32_e64 v20, v28, v30, s[38:39]                  // 00000000ABD0: D1000014 009A3D1C
	v_cmp_u_f32_e64 s[38:39], v27, v27                         // 00000000ABD8: D0480026 0002371B
	v_add3_u32 v28, v27, v31, 1                                // 00000000ABE0: D1FF001C 02063F1B
	v_cndmask_b32_e64 v21, v28, v30, s[38:39]                  // 00000000ABE8: D1000015 009A3D1C
	v_perm_b32 v25, v21, v20, s52                              // 00000000ABF0: D1ED0019 00D22915
	ds_write_b64 v5, v[24:25]                                  // 00000000ABF8: D89A0000 00001805
	v_mov_b32_e32 v24, v137                                    // 00000000AC00: 7E300389
	v_mov_b32_e32 v25, v141                                    // 00000000AC04: 7E32038D
	v_mov_b32_e32 v26, v145                                    // 00000000AC08: 7E340391
	v_accvgpr_read_b32 v27, a217                               // 00000000AC0C: D3D8401B 180001D9
	v_cmp_u_f32_e64 s[38:39], v24, v24                         // 00000000AC14: D0480026 00023118
	v_add3_u32 v28, v24, v31, 1                                // 00000000AC1C: D1FF001C 02063F18
	v_cndmask_b32_e64 v20, v28, v30, s[38:39]                  // 00000000AC24: D1000014 009A3D1C
	v_cmp_u_f32_e64 s[38:39], v25, v25                         // 00000000AC2C: D0480026 00023319
	v_add3_u32 v28, v25, v31, 1                                // 00000000AC34: D1FF001C 02063F19
	v_cndmask_b32_e64 v21, v28, v30, s[38:39]                  // 00000000AC3C: D1000015 009A3D1C
	v_perm_b32 v24, v21, v20, s52                              // 00000000AC44: D1ED0018 00D22915
	v_cmp_u_f32_e64 s[38:39], v26, v26                         // 00000000AC4C: D0480026 0002351A
	v_add3_u32 v28, v26, v31, 1                                // 00000000AC54: D1FF001C 02063F1A
	v_cndmask_b32_e64 v20, v28, v30, s[38:39]                  // 00000000AC5C: D1000014 009A3D1C
	v_cmp_u_f32_e64 s[38:39], v27, v27                         // 00000000AC64: D0480026 0002371B
	v_add3_u32 v28, v27, v31, 1                                // 00000000AC6C: D1FF001C 02063F1B
	v_cndmask_b32_e64 v21, v28, v30, s[38:39]                  // 00000000AC74: D1000015 009A3D1C
	v_perm_b32 v25, v21, v20, s52                              // 00000000AC7C: D1ED0019 00D22915
	ds_write_b64 v5, v[24:25] offset:1152                      // 00000000AC84: D89A0480 00001805
	v_mov_b32_e32 v24, v138                                    // 00000000AC8C: 7E30038A
	v_mov_b32_e32 v25, v142                                    // 00000000AC90: 7E32038E
	v_mov_b32_e32 v26, v146                                    // 00000000AC94: 7E340392
	v_accvgpr_read_b32 v27, a218                               // 00000000AC98: D3D8401B 180001DA
	v_cmp_u_f32_e64 s[38:39], v24, v24                         // 00000000ACA0: D0480026 00023118
	v_add3_u32 v28, v24, v31, 1                                // 00000000ACA8: D1FF001C 02063F18
	v_cndmask_b32_e64 v20, v28, v30, s[38:39]                  // 00000000ACB0: D1000014 009A3D1C
	v_cmp_u_f32_e64 s[38:39], v25, v25                         // 00000000ACB8: D0480026 00023319
	v_add3_u32 v28, v25, v31, 1                                // 00000000ACC0: D1FF001C 02063F19
	v_cndmask_b32_e64 v21, v28, v30, s[38:39]                  // 00000000ACC8: D1000015 009A3D1C
	v_perm_b32 v24, v21, v20, s52                              // 00000000ACD0: D1ED0018 00D22915
	v_cmp_u_f32_e64 s[38:39], v26, v26                         // 00000000ACD8: D0480026 0002351A
	v_add3_u32 v28, v26, v31, 1                                // 00000000ACE0: D1FF001C 02063F1A
	v_cndmask_b32_e64 v20, v28, v30, s[38:39]                  // 00000000ACE8: D1000014 009A3D1C
	v_cmp_u_f32_e64 s[38:39], v27, v27                         // 00000000ACF0: D0480026 0002371B
	v_add3_u32 v28, v27, v31, 1                                // 00000000ACF8: D1FF001C 02063F1B
	v_cndmask_b32_e64 v21, v28, v30, s[38:39]                  // 00000000AD00: D1000015 009A3D1C
	v_perm_b32 v25, v21, v20, s52                              // 00000000AD08: D1ED0019 00D22915
	ds_write_b64 v5, v[24:25] offset:144                       // 00000000AD10: D89A0090 00001805
	v_mov_b32_e32 v24, v139                                    // 00000000AD18: 7E30038B
	v_mov_b32_e32 v25, v143                                    // 00000000AD1C: 7E32038F
	v_mov_b32_e32 v26, v147                                    // 00000000AD20: 7E340393
	v_accvgpr_read_b32 v27, a219                               // 00000000AD24: D3D8401B 180001DB
	v_cmp_u_f32_e64 s[38:39], v24, v24                         // 00000000AD2C: D0480026 00023118
	v_add3_u32 v28, v24, v31, 1                                // 00000000AD34: D1FF001C 02063F18
	v_cndmask_b32_e64 v20, v28, v30, s[38:39]                  // 00000000AD3C: D1000014 009A3D1C
	v_cmp_u_f32_e64 s[38:39], v25, v25                         // 00000000AD44: D0480026 00023319
	v_add3_u32 v28, v25, v31, 1                                // 00000000AD4C: D1FF001C 02063F19
	v_cndmask_b32_e64 v21, v28, v30, s[38:39]                  // 00000000AD54: D1000015 009A3D1C
	v_perm_b32 v24, v21, v20, s52                              // 00000000AD5C: D1ED0018 00D22915
	v_cmp_u_f32_e64 s[38:39], v26, v26                         // 00000000AD64: D0480026 0002351A
	v_add3_u32 v28, v26, v31, 1                                // 00000000AD6C: D1FF001C 02063F1A
	v_cndmask_b32_e64 v20, v28, v30, s[38:39]                  // 00000000AD74: D1000014 009A3D1C
	v_cmp_u_f32_e64 s[38:39], v27, v27                         // 00000000AD7C: D0480026 0002371B
	v_add3_u32 v28, v27, v31, 1                                // 00000000AD84: D1FF001C 02063F1B
	v_cndmask_b32_e64 v21, v28, v30, s[38:39]                  // 00000000AD8C: D1000015 009A3D1C
	v_perm_b32 v25, v21, v20, s52                              // 00000000AD94: D1ED0019 00D22915
	ds_write_b64 v5, v[24:25] offset:1296                      // 00000000AD9C: D89A0510 00001805
	v_accvgpr_read_b32 v24, a220                               // 00000000ADA4: D3D84018 180001DC
	v_accvgpr_read_b32 v25, a224                               // 00000000ADAC: D3D84019 180001E0
	v_accvgpr_read_b32 v26, a228                               // 00000000ADB4: D3D8401A 180001E4
	v_accvgpr_read_b32 v27, a232                               // 00000000ADBC: D3D8401B 180001E8
	v_cmp_u_f32_e64 s[38:39], v24, v24                         // 00000000ADC4: D0480026 00023118
	v_add3_u32 v28, v24, v31, 1                                // 00000000ADCC: D1FF001C 02063F18
	v_cndmask_b32_e64 v20, v28, v30, s[38:39]                  // 00000000ADD4: D1000014 009A3D1C
	v_cmp_u_f32_e64 s[38:39], v25, v25                         // 00000000ADDC: D0480026 00023319
	v_add3_u32 v28, v25, v31, 1                                // 00000000ADE4: D1FF001C 02063F19
	v_cndmask_b32_e64 v21, v28, v30, s[38:39]                  // 00000000ADEC: D1000015 009A3D1C
	v_perm_b32 v24, v21, v20, s52                              // 00000000ADF4: D1ED0018 00D22915
	v_cmp_u_f32_e64 s[38:39], v26, v26                         // 00000000ADFC: D0480026 0002351A
	v_add3_u32 v28, v26, v31, 1                                // 00000000AE04: D1FF001C 02063F1A
	v_cndmask_b32_e64 v20, v28, v30, s[38:39]                  // 00000000AE0C: D1000014 009A3D1C
	v_cmp_u_f32_e64 s[38:39], v27, v27                         // 00000000AE14: D0480026 0002371B
	v_add3_u32 v28, v27, v31, 1                                // 00000000AE1C: D1FF001C 02063F1B
	v_cndmask_b32_e64 v21, v28, v30, s[38:39]                  // 00000000AE24: D1000015 009A3D1C
	v_perm_b32 v25, v21, v20, s52                              // 00000000AE2C: D1ED0019 00D22915
	ds_write_b64 v5, v[24:25] offset:2304                      // 00000000AE34: D89A0900 00001805
	v_accvgpr_read_b32 v24, a221                               // 00000000AE3C: D3D84018 180001DD
	v_accvgpr_read_b32 v25, a225                               // 00000000AE44: D3D84019 180001E1
	v_accvgpr_read_b32 v26, a229                               // 00000000AE4C: D3D8401A 180001E5
	v_accvgpr_read_b32 v27, a233                               // 00000000AE54: D3D8401B 180001E9
	v_cmp_u_f32_e64 s[38:39], v24, v24                         // 00000000AE5C: D0480026 00023118
	v_add3_u32 v28, v24, v31, 1                                // 00000000AE64: D1FF001C 02063F18
	v_cndmask_b32_e64 v20, v28, v30, s[38:39]                  // 00000000AE6C: D1000014 009A3D1C
	v_cmp_u_f32_e64 s[38:39], v25, v25                         // 00000000AE74: D0480026 00023319
	v_add3_u32 v28, v25, v31, 1                                // 00000000AE7C: D1FF001C 02063F19
	v_cndmask_b32_e64 v21, v28, v30, s[38:39]                  // 00000000AE84: D1000015 009A3D1C
	v_perm_b32 v24, v21, v20, s52                              // 00000000AE8C: D1ED0018 00D22915
	v_cmp_u_f32_e64 s[38:39], v26, v26                         // 00000000AE94: D0480026 0002351A
	v_add3_u32 v28, v26, v31, 1                                // 00000000AE9C: D1FF001C 02063F1A
	v_cndmask_b32_e64 v20, v28, v30, s[38:39]                  // 00000000AEA4: D1000014 009A3D1C
	v_cmp_u_f32_e64 s[38:39], v27, v27                         // 00000000AEAC: D0480026 0002371B
	v_add3_u32 v28, v27, v31, 1                                // 00000000AEB4: D1FF001C 02063F1B
	v_cndmask_b32_e64 v21, v28, v30, s[38:39]                  // 00000000AEBC: D1000015 009A3D1C
	v_perm_b32 v25, v21, v20, s52                              // 00000000AEC4: D1ED0019 00D22915
	ds_write_b64 v5, v[24:25] offset:3456                      // 00000000AECC: D89A0D80 00001805
	v_accvgpr_read_b32 v24, a222                               // 00000000AED4: D3D84018 180001DE
	v_accvgpr_read_b32 v25, a226                               // 00000000AEDC: D3D84019 180001E2
	v_accvgpr_read_b32 v26, a230                               // 00000000AEE4: D3D8401A 180001E6
	v_accvgpr_read_b32 v27, a234                               // 00000000AEEC: D3D8401B 180001EA
	v_cmp_u_f32_e64 s[38:39], v24, v24                         // 00000000AEF4: D0480026 00023118
	v_add3_u32 v28, v24, v31, 1                                // 00000000AEFC: D1FF001C 02063F18
	v_cndmask_b32_e64 v20, v28, v30, s[38:39]                  // 00000000AF04: D1000014 009A3D1C
	v_cmp_u_f32_e64 s[38:39], v25, v25                         // 00000000AF0C: D0480026 00023319
	v_add3_u32 v28, v25, v31, 1                                // 00000000AF14: D1FF001C 02063F19
	v_cndmask_b32_e64 v21, v28, v30, s[38:39]                  // 00000000AF1C: D1000015 009A3D1C
	v_perm_b32 v24, v21, v20, s52                              // 00000000AF24: D1ED0018 00D22915
	v_cmp_u_f32_e64 s[38:39], v26, v26                         // 00000000AF2C: D0480026 0002351A
	v_add3_u32 v28, v26, v31, 1                                // 00000000AF34: D1FF001C 02063F1A
	v_cndmask_b32_e64 v20, v28, v30, s[38:39]                  // 00000000AF3C: D1000014 009A3D1C
	v_cmp_u_f32_e64 s[38:39], v27, v27                         // 00000000AF44: D0480026 0002371B
	v_add3_u32 v28, v27, v31, 1                                // 00000000AF4C: D1FF001C 02063F1B
	v_cndmask_b32_e64 v21, v28, v30, s[38:39]                  // 00000000AF54: D1000015 009A3D1C
	v_perm_b32 v25, v21, v20, s52                              // 00000000AF5C: D1ED0019 00D22915
	ds_write_b64 v5, v[24:25] offset:2448                      // 00000000AF64: D89A0990 00001805
	v_accvgpr_read_b32 v24, a223                               // 00000000AF6C: D3D84018 180001DF
	v_accvgpr_read_b32 v25, a227                               // 00000000AF74: D3D84019 180001E3
	v_accvgpr_read_b32 v26, a231                               // 00000000AF7C: D3D8401A 180001E7
	v_accvgpr_read_b32 v27, a235                               // 00000000AF84: D3D8401B 180001EB
	v_cmp_u_f32_e64 s[38:39], v24, v24                         // 00000000AF8C: D0480026 00023118
	v_add3_u32 v28, v24, v31, 1                                // 00000000AF94: D1FF001C 02063F18
	v_cndmask_b32_e64 v20, v28, v30, s[38:39]                  // 00000000AF9C: D1000014 009A3D1C
	v_cmp_u_f32_e64 s[38:39], v25, v25                         // 00000000AFA4: D0480026 00023319
	v_add3_u32 v28, v25, v31, 1                                // 00000000AFAC: D1FF001C 02063F19
	v_cndmask_b32_e64 v21, v28, v30, s[38:39]                  // 00000000AFB4: D1000015 009A3D1C
	v_perm_b32 v24, v21, v20, s52                              // 00000000AFBC: D1ED0018 00D22915
	v_cmp_u_f32_e64 s[38:39], v26, v26                         // 00000000AFC4: D0480026 0002351A
	v_add3_u32 v28, v26, v31, 1                                // 00000000AFCC: D1FF001C 02063F1A
	v_cndmask_b32_e64 v20, v28, v30, s[38:39]                  // 00000000AFD4: D1000014 009A3D1C
	v_cmp_u_f32_e64 s[38:39], v27, v27                         // 00000000AFDC: D0480026 0002371B
	v_add3_u32 v28, v27, v31, 1                                // 00000000AFE4: D1FF001C 02063F1B
	v_cndmask_b32_e64 v21, v28, v30, s[38:39]                  // 00000000AFEC: D1000015 009A3D1C
	v_perm_b32 v25, v21, v20, s52                              // 00000000AFF4: D1ED0019 00D22915
	ds_write_b64 v5, v[24:25] offset:3600                      // 00000000AFFC: D89A0E10 00001805
	s_waitcnt lgkmcnt(4)                                       // 00000000B004: BF8CC47F
	ds_read_b64 v[40:41], v4                                   // 00000000B008: D8EC0000 28000004
	ds_read_b64 v[44:45], v4 offset:64                         // 00000000B010: D8EC0040 2C000004
	ds_read_b64 v[42:43], v4 offset:1152                       // 00000000B018: D8EC0480 2A000004
	ds_read_b64 v[46:47], v4 offset:1216                       // 00000000B020: D8EC04C0 2E000004
	s_waitcnt lgkmcnt(4)                                       // 00000000B028: BF8CC47F
	ds_read_b64 v[48:49], v4 offset:2304                       // 00000000B02C: D8EC0900 30000004
	ds_read_b64 v[52:53], v4 offset:2368                       // 00000000B034: D8EC0940 34000004
	ds_read_b64 v[50:51], v4 offset:3456                       // 00000000B03C: D8EC0D80 32000004
	ds_read_b64 v[54:55], v4 offset:3520                       // 00000000B044: D8EC0DC0 36000004
	s_waitcnt lgkmcnt(0)                                       // 00000000B04C: BF8CC07F
	v_mov_b32_e32 v18, v19                                     // 00000000B050: 7E240313
	buffer_store_dwordx4 v[40:43], v18, s[8:11], 0 offen offset:768// 00000000B054: E07C1300 80022812
	buffer_store_dwordx4 v[48:51], v18, s[8:11], 0 offen offset:896// 00000000B05C: E07C1380 80023012
	v_add_u32_e32 v18, 0x2000, v18                             // 00000000B064: 682424FF 00002000
	buffer_store_dwordx4 v[44:47], v18, s[8:11], 0 offen offset:768// 00000000B06C: E07C1300 80022C12
	buffer_store_dwordx4 v[52:55], v18, s[8:11], 0 offen offset:896// 00000000B074: E07C1380 80023412
	v_add_u32_e32 v18, 0x2000, v18                             // 00000000B07C: 682424FF 00002000
	s_mov_b32 s56, 0x10000                                     // 00000000B084: BEB800FF 00010000
	v_add_u32_e64 v19, v19, s56                                // 00000000B08C: D1340013 00007113
	v_mov_b32_e32 v24, v148                                    // 00000000B094: 7E300394
	v_mov_b32_e32 v25, v152                                    // 00000000B098: 7E320398
	v_mov_b32_e32 v26, v156                                    // 00000000B09C: 7E34039C
	v_mov_b32_e32 v27, v160                                    // 00000000B0A0: 7E3603A0
	v_cmp_u_f32_e64 s[38:39], v24, v24                         // 00000000B0A4: D0480026 00023118
	v_add3_u32 v28, v24, v31, 1                                // 00000000B0AC: D1FF001C 02063F18
	v_cndmask_b32_e64 v20, v28, v30, s[38:39]                  // 00000000B0B4: D1000014 009A3D1C
	v_cmp_u_f32_e64 s[38:39], v25, v25                         // 00000000B0BC: D0480026 00023319
	v_add3_u32 v28, v25, v31, 1                                // 00000000B0C4: D1FF001C 02063F19
	v_cndmask_b32_e64 v21, v28, v30, s[38:39]                  // 00000000B0CC: D1000015 009A3D1C
	v_perm_b32 v24, v21, v20, s52                              // 00000000B0D4: D1ED0018 00D22915
	v_cmp_u_f32_e64 s[38:39], v26, v26                         // 00000000B0DC: D0480026 0002351A
	v_add3_u32 v28, v26, v31, 1                                // 00000000B0E4: D1FF001C 02063F1A
	v_cndmask_b32_e64 v20, v28, v30, s[38:39]                  // 00000000B0EC: D1000014 009A3D1C
	v_cmp_u_f32_e64 s[38:39], v27, v27                         // 00000000B0F4: D0480026 0002371B
	v_add3_u32 v28, v27, v31, 1                                // 00000000B0FC: D1FF001C 02063F1B
	v_cndmask_b32_e64 v21, v28, v30, s[38:39]                  // 00000000B104: D1000015 009A3D1C
	v_perm_b32 v25, v21, v20, s52                              // 00000000B10C: D1ED0019 00D22915
	ds_write_b64 v5, v[24:25]                                  // 00000000B114: D89A0000 00001805
	v_mov_b32_e32 v24, v149                                    // 00000000B11C: 7E300395
	v_mov_b32_e32 v25, v153                                    // 00000000B120: 7E320399
	v_mov_b32_e32 v26, v157                                    // 00000000B124: 7E34039D
	v_mov_b32_e32 v27, v161                                    // 00000000B128: 7E3603A1
	v_cmp_u_f32_e64 s[38:39], v24, v24                         // 00000000B12C: D0480026 00023118
	v_add3_u32 v28, v24, v31, 1                                // 00000000B134: D1FF001C 02063F18
	v_cndmask_b32_e64 v20, v28, v30, s[38:39]                  // 00000000B13C: D1000014 009A3D1C
	v_cmp_u_f32_e64 s[38:39], v25, v25                         // 00000000B144: D0480026 00023319
	v_add3_u32 v28, v25, v31, 1                                // 00000000B14C: D1FF001C 02063F19
	v_cndmask_b32_e64 v21, v28, v30, s[38:39]                  // 00000000B154: D1000015 009A3D1C
	v_perm_b32 v24, v21, v20, s52                              // 00000000B15C: D1ED0018 00D22915
	v_cmp_u_f32_e64 s[38:39], v26, v26                         // 00000000B164: D0480026 0002351A
	v_add3_u32 v28, v26, v31, 1                                // 00000000B16C: D1FF001C 02063F1A
	v_cndmask_b32_e64 v20, v28, v30, s[38:39]                  // 00000000B174: D1000014 009A3D1C
	v_cmp_u_f32_e64 s[38:39], v27, v27                         // 00000000B17C: D0480026 0002371B
	v_add3_u32 v28, v27, v31, 1                                // 00000000B184: D1FF001C 02063F1B
	v_cndmask_b32_e64 v21, v28, v30, s[38:39]                  // 00000000B18C: D1000015 009A3D1C
	v_perm_b32 v25, v21, v20, s52                              // 00000000B194: D1ED0019 00D22915
	ds_write_b64 v5, v[24:25] offset:1152                      // 00000000B19C: D89A0480 00001805
	v_mov_b32_e32 v24, v150                                    // 00000000B1A4: 7E300396
	v_mov_b32_e32 v25, v154                                    // 00000000B1A8: 7E32039A
	v_mov_b32_e32 v26, v158                                    // 00000000B1AC: 7E34039E
	v_mov_b32_e32 v27, v162                                    // 00000000B1B0: 7E3603A2
	v_cmp_u_f32_e64 s[38:39], v24, v24                         // 00000000B1B4: D0480026 00023118
	v_add3_u32 v28, v24, v31, 1                                // 00000000B1BC: D1FF001C 02063F18
	v_cndmask_b32_e64 v20, v28, v30, s[38:39]                  // 00000000B1C4: D1000014 009A3D1C
	v_cmp_u_f32_e64 s[38:39], v25, v25                         // 00000000B1CC: D0480026 00023319
	v_add3_u32 v28, v25, v31, 1                                // 00000000B1D4: D1FF001C 02063F19
	v_cndmask_b32_e64 v21, v28, v30, s[38:39]                  // 00000000B1DC: D1000015 009A3D1C
	v_perm_b32 v24, v21, v20, s52                              // 00000000B1E4: D1ED0018 00D22915
	v_cmp_u_f32_e64 s[38:39], v26, v26                         // 00000000B1EC: D0480026 0002351A
	v_add3_u32 v28, v26, v31, 1                                // 00000000B1F4: D1FF001C 02063F1A
	v_cndmask_b32_e64 v20, v28, v30, s[38:39]                  // 00000000B1FC: D1000014 009A3D1C
	v_cmp_u_f32_e64 s[38:39], v27, v27                         // 00000000B204: D0480026 0002371B
	v_add3_u32 v28, v27, v31, 1                                // 00000000B20C: D1FF001C 02063F1B
	v_cndmask_b32_e64 v21, v28, v30, s[38:39]                  // 00000000B214: D1000015 009A3D1C
	v_perm_b32 v25, v21, v20, s52                              // 00000000B21C: D1ED0019 00D22915
	ds_write_b64 v5, v[24:25] offset:144                       // 00000000B224: D89A0090 00001805
	v_mov_b32_e32 v24, v151                                    // 00000000B22C: 7E300397
	v_mov_b32_e32 v25, v155                                    // 00000000B230: 7E32039B
	v_mov_b32_e32 v26, v159                                    // 00000000B234: 7E34039F
	v_mov_b32_e32 v27, v163                                    // 00000000B238: 7E3603A3
	v_cmp_u_f32_e64 s[38:39], v24, v24                         // 00000000B23C: D0480026 00023118
	v_add3_u32 v28, v24, v31, 1                                // 00000000B244: D1FF001C 02063F18
	v_cndmask_b32_e64 v20, v28, v30, s[38:39]                  // 00000000B24C: D1000014 009A3D1C
	v_cmp_u_f32_e64 s[38:39], v25, v25                         // 00000000B254: D0480026 00023319
	v_add3_u32 v28, v25, v31, 1                                // 00000000B25C: D1FF001C 02063F19
	v_cndmask_b32_e64 v21, v28, v30, s[38:39]                  // 00000000B264: D1000015 009A3D1C
	v_perm_b32 v24, v21, v20, s52                              // 00000000B26C: D1ED0018 00D22915
	v_cmp_u_f32_e64 s[38:39], v26, v26                         // 00000000B274: D0480026 0002351A
	v_add3_u32 v28, v26, v31, 1                                // 00000000B27C: D1FF001C 02063F1A
	v_cndmask_b32_e64 v20, v28, v30, s[38:39]                  // 00000000B284: D1000014 009A3D1C
	v_cmp_u_f32_e64 s[38:39], v27, v27                         // 00000000B28C: D0480026 0002371B
	v_add3_u32 v28, v27, v31, 1                                // 00000000B294: D1FF001C 02063F1B
	v_cndmask_b32_e64 v21, v28, v30, s[38:39]                  // 00000000B29C: D1000015 009A3D1C
	v_perm_b32 v25, v21, v20, s52                              // 00000000B2A4: D1ED0019 00D22915
	ds_write_b64 v5, v[24:25] offset:1296                      // 00000000B2AC: D89A0510 00001805
	v_mov_b32_e32 v24, v164                                    // 00000000B2B4: 7E3003A4
	v_mov_b32_e32 v25, v168                                    // 00000000B2B8: 7E3203A8
	v_mov_b32_e32 v26, v172                                    // 00000000B2BC: 7E3403AC
	v_mov_b32_e32 v27, v176                                    // 00000000B2C0: 7E3603B0
	v_cmp_u_f32_e64 s[38:39], v24, v24                         // 00000000B2C4: D0480026 00023118
	v_add3_u32 v28, v24, v31, 1                                // 00000000B2CC: D1FF001C 02063F18
	v_cndmask_b32_e64 v20, v28, v30, s[38:39]                  // 00000000B2D4: D1000014 009A3D1C
	v_cmp_u_f32_e64 s[38:39], v25, v25                         // 00000000B2DC: D0480026 00023319
	v_add3_u32 v28, v25, v31, 1                                // 00000000B2E4: D1FF001C 02063F19
	v_cndmask_b32_e64 v21, v28, v30, s[38:39]                  // 00000000B2EC: D1000015 009A3D1C
	v_perm_b32 v24, v21, v20, s52                              // 00000000B2F4: D1ED0018 00D22915
	v_cmp_u_f32_e64 s[38:39], v26, v26                         // 00000000B2FC: D0480026 0002351A
	v_add3_u32 v28, v26, v31, 1                                // 00000000B304: D1FF001C 02063F1A
	v_cndmask_b32_e64 v20, v28, v30, s[38:39]                  // 00000000B30C: D1000014 009A3D1C
	v_cmp_u_f32_e64 s[38:39], v27, v27                         // 00000000B314: D0480026 0002371B
	v_add3_u32 v28, v27, v31, 1                                // 00000000B31C: D1FF001C 02063F1B
	v_cndmask_b32_e64 v21, v28, v30, s[38:39]                  // 00000000B324: D1000015 009A3D1C
	v_perm_b32 v25, v21, v20, s52                              // 00000000B32C: D1ED0019 00D22915
	ds_write_b64 v5, v[24:25] offset:2304                      // 00000000B334: D89A0900 00001805
	v_mov_b32_e32 v24, v165                                    // 00000000B33C: 7E3003A5
	v_mov_b32_e32 v25, v169                                    // 00000000B340: 7E3203A9
	v_mov_b32_e32 v26, v173                                    // 00000000B344: 7E3403AD
	v_mov_b32_e32 v27, v177                                    // 00000000B348: 7E3603B1
	v_cmp_u_f32_e64 s[38:39], v24, v24                         // 00000000B34C: D0480026 00023118
	v_add3_u32 v28, v24, v31, 1                                // 00000000B354: D1FF001C 02063F18
	v_cndmask_b32_e64 v20, v28, v30, s[38:39]                  // 00000000B35C: D1000014 009A3D1C
	v_cmp_u_f32_e64 s[38:39], v25, v25                         // 00000000B364: D0480026 00023319
	v_add3_u32 v28, v25, v31, 1                                // 00000000B36C: D1FF001C 02063F19
	v_cndmask_b32_e64 v21, v28, v30, s[38:39]                  // 00000000B374: D1000015 009A3D1C
	v_perm_b32 v24, v21, v20, s52                              // 00000000B37C: D1ED0018 00D22915
	v_cmp_u_f32_e64 s[38:39], v26, v26                         // 00000000B384: D0480026 0002351A
	v_add3_u32 v28, v26, v31, 1                                // 00000000B38C: D1FF001C 02063F1A
	v_cndmask_b32_e64 v20, v28, v30, s[38:39]                  // 00000000B394: D1000014 009A3D1C
	v_cmp_u_f32_e64 s[38:39], v27, v27                         // 00000000B39C: D0480026 0002371B
	v_add3_u32 v28, v27, v31, 1                                // 00000000B3A4: D1FF001C 02063F1B
	v_cndmask_b32_e64 v21, v28, v30, s[38:39]                  // 00000000B3AC: D1000015 009A3D1C
	v_perm_b32 v25, v21, v20, s52                              // 00000000B3B4: D1ED0019 00D22915
	ds_write_b64 v5, v[24:25] offset:3456                      // 00000000B3BC: D89A0D80 00001805
	v_mov_b32_e32 v24, v166                                    // 00000000B3C4: 7E3003A6
	v_mov_b32_e32 v25, v170                                    // 00000000B3C8: 7E3203AA
	v_mov_b32_e32 v26, v174                                    // 00000000B3CC: 7E3403AE
	v_mov_b32_e32 v27, v178                                    // 00000000B3D0: 7E3603B2
	v_cmp_u_f32_e64 s[38:39], v24, v24                         // 00000000B3D4: D0480026 00023118
	v_add3_u32 v28, v24, v31, 1                                // 00000000B3DC: D1FF001C 02063F18
	v_cndmask_b32_e64 v20, v28, v30, s[38:39]                  // 00000000B3E4: D1000014 009A3D1C
	v_cmp_u_f32_e64 s[38:39], v25, v25                         // 00000000B3EC: D0480026 00023319
	v_add3_u32 v28, v25, v31, 1                                // 00000000B3F4: D1FF001C 02063F19
	v_cndmask_b32_e64 v21, v28, v30, s[38:39]                  // 00000000B3FC: D1000015 009A3D1C
	v_perm_b32 v24, v21, v20, s52                              // 00000000B404: D1ED0018 00D22915
	v_cmp_u_f32_e64 s[38:39], v26, v26                         // 00000000B40C: D0480026 0002351A
	v_add3_u32 v28, v26, v31, 1                                // 00000000B414: D1FF001C 02063F1A
	v_cndmask_b32_e64 v20, v28, v30, s[38:39]                  // 00000000B41C: D1000014 009A3D1C
	v_cmp_u_f32_e64 s[38:39], v27, v27                         // 00000000B424: D0480026 0002371B
	v_add3_u32 v28, v27, v31, 1                                // 00000000B42C: D1FF001C 02063F1B
	v_cndmask_b32_e64 v21, v28, v30, s[38:39]                  // 00000000B434: D1000015 009A3D1C
	v_perm_b32 v25, v21, v20, s52                              // 00000000B43C: D1ED0019 00D22915
	ds_write_b64 v5, v[24:25] offset:2448                      // 00000000B444: D89A0990 00001805
	v_mov_b32_e32 v24, v167                                    // 00000000B44C: 7E3003A7
	v_mov_b32_e32 v25, v171                                    // 00000000B450: 7E3203AB
	v_mov_b32_e32 v26, v175                                    // 00000000B454: 7E3403AF
	v_mov_b32_e32 v27, v179                                    // 00000000B458: 7E3603B3
	v_cmp_u_f32_e64 s[38:39], v24, v24                         // 00000000B45C: D0480026 00023118
	v_add3_u32 v28, v24, v31, 1                                // 00000000B464: D1FF001C 02063F18
	v_cndmask_b32_e64 v20, v28, v30, s[38:39]                  // 00000000B46C: D1000014 009A3D1C
	v_cmp_u_f32_e64 s[38:39], v25, v25                         // 00000000B474: D0480026 00023319
	v_add3_u32 v28, v25, v31, 1                                // 00000000B47C: D1FF001C 02063F19
	v_cndmask_b32_e64 v21, v28, v30, s[38:39]                  // 00000000B484: D1000015 009A3D1C
	v_perm_b32 v24, v21, v20, s52                              // 00000000B48C: D1ED0018 00D22915
	v_cmp_u_f32_e64 s[38:39], v26, v26                         // 00000000B494: D0480026 0002351A
	v_add3_u32 v28, v26, v31, 1                                // 00000000B49C: D1FF001C 02063F1A
	v_cndmask_b32_e64 v20, v28, v30, s[38:39]                  // 00000000B4A4: D1000014 009A3D1C
	v_cmp_u_f32_e64 s[38:39], v27, v27                         // 00000000B4AC: D0480026 0002371B
	v_add3_u32 v28, v27, v31, 1                                // 00000000B4B4: D1FF001C 02063F1B
	v_cndmask_b32_e64 v21, v28, v30, s[38:39]                  // 00000000B4BC: D1000015 009A3D1C
	v_perm_b32 v25, v21, v20, s52                              // 00000000B4C4: D1ED0019 00D22915
	ds_write_b64 v5, v[24:25] offset:3600                      // 00000000B4CC: D89A0E10 00001805
	s_waitcnt lgkmcnt(4)                                       // 00000000B4D4: BF8CC47F
	ds_read_b64 v[40:41], v4                                   // 00000000B4D8: D8EC0000 28000004
	ds_read_b64 v[44:45], v4 offset:64                         // 00000000B4E0: D8EC0040 2C000004
	ds_read_b64 v[42:43], v4 offset:1152                       // 00000000B4E8: D8EC0480 2A000004
	ds_read_b64 v[46:47], v4 offset:1216                       // 00000000B4F0: D8EC04C0 2E000004
	s_waitcnt lgkmcnt(4)                                       // 00000000B4F8: BF8CC47F
	ds_read_b64 v[48:49], v4 offset:2304                       // 00000000B4FC: D8EC0900 30000004
	ds_read_b64 v[52:53], v4 offset:2368                       // 00000000B504: D8EC0940 34000004
	ds_read_b64 v[50:51], v4 offset:3456                       // 00000000B50C: D8EC0D80 32000004
	ds_read_b64 v[54:55], v4 offset:3520                       // 00000000B514: D8EC0DC0 36000004
	s_waitcnt lgkmcnt(0)                                       // 00000000B51C: BF8CC07F
	v_mov_b32_e32 v18, v19                                     // 00000000B520: 7E240313
	buffer_store_dwordx4 v[40:43], v18, s[8:11], 0 offen       // 00000000B524: E07C1000 80022812
	buffer_store_dwordx4 v[48:51], v18, s[8:11], 0 offen offset:128// 00000000B52C: E07C1080 80023012
	v_add_u32_e32 v18, 0x2000, v18                             // 00000000B534: 682424FF 00002000
	buffer_store_dwordx4 v[44:47], v18, s[8:11], 0 offen       // 00000000B53C: E07C1000 80022C12
	buffer_store_dwordx4 v[52:55], v18, s[8:11], 0 offen offset:128// 00000000B544: E07C1080 80023412
	v_add_u32_e32 v18, 0x2000, v18                             // 00000000B54C: 682424FF 00002000
	v_mov_b32_e32 v24, v180                                    // 00000000B554: 7E3003B4
	v_mov_b32_e32 v25, v184                                    // 00000000B558: 7E3203B8
	v_mov_b32_e32 v26, v188                                    // 00000000B55C: 7E3403BC
	v_mov_b32_e32 v27, v192                                    // 00000000B560: 7E3603C0
	v_cmp_u_f32_e64 s[38:39], v24, v24                         // 00000000B564: D0480026 00023118
	v_add3_u32 v28, v24, v31, 1                                // 00000000B56C: D1FF001C 02063F18
	v_cndmask_b32_e64 v20, v28, v30, s[38:39]                  // 00000000B574: D1000014 009A3D1C
	v_cmp_u_f32_e64 s[38:39], v25, v25                         // 00000000B57C: D0480026 00023319
	v_add3_u32 v28, v25, v31, 1                                // 00000000B584: D1FF001C 02063F19
	v_cndmask_b32_e64 v21, v28, v30, s[38:39]                  // 00000000B58C: D1000015 009A3D1C
	v_perm_b32 v24, v21, v20, s52                              // 00000000B594: D1ED0018 00D22915
	v_cmp_u_f32_e64 s[38:39], v26, v26                         // 00000000B59C: D0480026 0002351A
	v_add3_u32 v28, v26, v31, 1                                // 00000000B5A4: D1FF001C 02063F1A
	v_cndmask_b32_e64 v20, v28, v30, s[38:39]                  // 00000000B5AC: D1000014 009A3D1C
	v_cmp_u_f32_e64 s[38:39], v27, v27                         // 00000000B5B4: D0480026 0002371B
	v_add3_u32 v28, v27, v31, 1                                // 00000000B5BC: D1FF001C 02063F1B
	v_cndmask_b32_e64 v21, v28, v30, s[38:39]                  // 00000000B5C4: D1000015 009A3D1C
	v_perm_b32 v25, v21, v20, s52                              // 00000000B5CC: D1ED0019 00D22915
	ds_write_b64 v5, v[24:25]                                  // 00000000B5D4: D89A0000 00001805
	v_mov_b32_e32 v24, v181                                    // 00000000B5DC: 7E3003B5
	v_mov_b32_e32 v25, v185                                    // 00000000B5E0: 7E3203B9
	v_mov_b32_e32 v26, v189                                    // 00000000B5E4: 7E3403BD
	v_mov_b32_e32 v27, v193                                    // 00000000B5E8: 7E3603C1
	v_cmp_u_f32_e64 s[38:39], v24, v24                         // 00000000B5EC: D0480026 00023118
	v_add3_u32 v28, v24, v31, 1                                // 00000000B5F4: D1FF001C 02063F18
	v_cndmask_b32_e64 v20, v28, v30, s[38:39]                  // 00000000B5FC: D1000014 009A3D1C
	v_cmp_u_f32_e64 s[38:39], v25, v25                         // 00000000B604: D0480026 00023319
	v_add3_u32 v28, v25, v31, 1                                // 00000000B60C: D1FF001C 02063F19
	v_cndmask_b32_e64 v21, v28, v30, s[38:39]                  // 00000000B614: D1000015 009A3D1C
	v_perm_b32 v24, v21, v20, s52                              // 00000000B61C: D1ED0018 00D22915
	v_cmp_u_f32_e64 s[38:39], v26, v26                         // 00000000B624: D0480026 0002351A
	v_add3_u32 v28, v26, v31, 1                                // 00000000B62C: D1FF001C 02063F1A
	v_cndmask_b32_e64 v20, v28, v30, s[38:39]                  // 00000000B634: D1000014 009A3D1C
	v_cmp_u_f32_e64 s[38:39], v27, v27                         // 00000000B63C: D0480026 0002371B
	v_add3_u32 v28, v27, v31, 1                                // 00000000B644: D1FF001C 02063F1B
	v_cndmask_b32_e64 v21, v28, v30, s[38:39]                  // 00000000B64C: D1000015 009A3D1C
	v_perm_b32 v25, v21, v20, s52                              // 00000000B654: D1ED0019 00D22915
	ds_write_b64 v5, v[24:25] offset:1152                      // 00000000B65C: D89A0480 00001805
	v_mov_b32_e32 v24, v182                                    // 00000000B664: 7E3003B6
	v_mov_b32_e32 v25, v186                                    // 00000000B668: 7E3203BA
	v_mov_b32_e32 v26, v190                                    // 00000000B66C: 7E3403BE
	v_mov_b32_e32 v27, v194                                    // 00000000B670: 7E3603C2
	v_cmp_u_f32_e64 s[38:39], v24, v24                         // 00000000B674: D0480026 00023118
	v_add3_u32 v28, v24, v31, 1                                // 00000000B67C: D1FF001C 02063F18
	v_cndmask_b32_e64 v20, v28, v30, s[38:39]                  // 00000000B684: D1000014 009A3D1C
	v_cmp_u_f32_e64 s[38:39], v25, v25                         // 00000000B68C: D0480026 00023319
	v_add3_u32 v28, v25, v31, 1                                // 00000000B694: D1FF001C 02063F19
	v_cndmask_b32_e64 v21, v28, v30, s[38:39]                  // 00000000B69C: D1000015 009A3D1C
	v_perm_b32 v24, v21, v20, s52                              // 00000000B6A4: D1ED0018 00D22915
	v_cmp_u_f32_e64 s[38:39], v26, v26                         // 00000000B6AC: D0480026 0002351A
	v_add3_u32 v28, v26, v31, 1                                // 00000000B6B4: D1FF001C 02063F1A
	v_cndmask_b32_e64 v20, v28, v30, s[38:39]                  // 00000000B6BC: D1000014 009A3D1C
	v_cmp_u_f32_e64 s[38:39], v27, v27                         // 00000000B6C4: D0480026 0002371B
	v_add3_u32 v28, v27, v31, 1                                // 00000000B6CC: D1FF001C 02063F1B
	v_cndmask_b32_e64 v21, v28, v30, s[38:39]                  // 00000000B6D4: D1000015 009A3D1C
	v_perm_b32 v25, v21, v20, s52                              // 00000000B6DC: D1ED0019 00D22915
	ds_write_b64 v5, v[24:25] offset:144                       // 00000000B6E4: D89A0090 00001805
	v_mov_b32_e32 v24, v183                                    // 00000000B6EC: 7E3003B7
	v_mov_b32_e32 v25, v187                                    // 00000000B6F0: 7E3203BB
	v_mov_b32_e32 v26, v191                                    // 00000000B6F4: 7E3403BF
	v_mov_b32_e32 v27, v195                                    // 00000000B6F8: 7E3603C3
	v_cmp_u_f32_e64 s[38:39], v24, v24                         // 00000000B6FC: D0480026 00023118
	v_add3_u32 v28, v24, v31, 1                                // 00000000B704: D1FF001C 02063F18
	v_cndmask_b32_e64 v20, v28, v30, s[38:39]                  // 00000000B70C: D1000014 009A3D1C
	v_cmp_u_f32_e64 s[38:39], v25, v25                         // 00000000B714: D0480026 00023319
	v_add3_u32 v28, v25, v31, 1                                // 00000000B71C: D1FF001C 02063F19
	v_cndmask_b32_e64 v21, v28, v30, s[38:39]                  // 00000000B724: D1000015 009A3D1C
	v_perm_b32 v24, v21, v20, s52                              // 00000000B72C: D1ED0018 00D22915
	v_cmp_u_f32_e64 s[38:39], v26, v26                         // 00000000B734: D0480026 0002351A
	v_add3_u32 v28, v26, v31, 1                                // 00000000B73C: D1FF001C 02063F1A
	v_cndmask_b32_e64 v20, v28, v30, s[38:39]                  // 00000000B744: D1000014 009A3D1C
	v_cmp_u_f32_e64 s[38:39], v27, v27                         // 00000000B74C: D0480026 0002371B
	v_add3_u32 v28, v27, v31, 1                                // 00000000B754: D1FF001C 02063F1B
	v_cndmask_b32_e64 v21, v28, v30, s[38:39]                  // 00000000B75C: D1000015 009A3D1C
	v_perm_b32 v25, v21, v20, s52                              // 00000000B764: D1ED0019 00D22915
	ds_write_b64 v5, v[24:25] offset:1296                      // 00000000B76C: D89A0510 00001805
	v_mov_b32_e32 v24, v196                                    // 00000000B774: 7E3003C4
	v_mov_b32_e32 v25, v200                                    // 00000000B778: 7E3203C8
	v_mov_b32_e32 v26, v204                                    // 00000000B77C: 7E3403CC
	v_mov_b32_e32 v27, v208                                    // 00000000B780: 7E3603D0
	v_cmp_u_f32_e64 s[38:39], v24, v24                         // 00000000B784: D0480026 00023118
	v_add3_u32 v28, v24, v31, 1                                // 00000000B78C: D1FF001C 02063F18
	v_cndmask_b32_e64 v20, v28, v30, s[38:39]                  // 00000000B794: D1000014 009A3D1C
	v_cmp_u_f32_e64 s[38:39], v25, v25                         // 00000000B79C: D0480026 00023319
	v_add3_u32 v28, v25, v31, 1                                // 00000000B7A4: D1FF001C 02063F19
	v_cndmask_b32_e64 v21, v28, v30, s[38:39]                  // 00000000B7AC: D1000015 009A3D1C
	v_perm_b32 v24, v21, v20, s52                              // 00000000B7B4: D1ED0018 00D22915
	v_cmp_u_f32_e64 s[38:39], v26, v26                         // 00000000B7BC: D0480026 0002351A
	v_add3_u32 v28, v26, v31, 1                                // 00000000B7C4: D1FF001C 02063F1A
	v_cndmask_b32_e64 v20, v28, v30, s[38:39]                  // 00000000B7CC: D1000014 009A3D1C
	v_cmp_u_f32_e64 s[38:39], v27, v27                         // 00000000B7D4: D0480026 0002371B
	v_add3_u32 v28, v27, v31, 1                                // 00000000B7DC: D1FF001C 02063F1B
	v_cndmask_b32_e64 v21, v28, v30, s[38:39]                  // 00000000B7E4: D1000015 009A3D1C
	v_perm_b32 v25, v21, v20, s52                              // 00000000B7EC: D1ED0019 00D22915
	ds_write_b64 v5, v[24:25] offset:2304                      // 00000000B7F4: D89A0900 00001805
	v_mov_b32_e32 v24, v197                                    // 00000000B7FC: 7E3003C5
	v_mov_b32_e32 v25, v201                                    // 00000000B800: 7E3203C9
	v_mov_b32_e32 v26, v205                                    // 00000000B804: 7E3403CD
	v_mov_b32_e32 v27, v209                                    // 00000000B808: 7E3603D1
	v_cmp_u_f32_e64 s[38:39], v24, v24                         // 00000000B80C: D0480026 00023118
	v_add3_u32 v28, v24, v31, 1                                // 00000000B814: D1FF001C 02063F18
	v_cndmask_b32_e64 v20, v28, v30, s[38:39]                  // 00000000B81C: D1000014 009A3D1C
	v_cmp_u_f32_e64 s[38:39], v25, v25                         // 00000000B824: D0480026 00023319
	v_add3_u32 v28, v25, v31, 1                                // 00000000B82C: D1FF001C 02063F19
	v_cndmask_b32_e64 v21, v28, v30, s[38:39]                  // 00000000B834: D1000015 009A3D1C
	v_perm_b32 v24, v21, v20, s52                              // 00000000B83C: D1ED0018 00D22915
	v_cmp_u_f32_e64 s[38:39], v26, v26                         // 00000000B844: D0480026 0002351A
	v_add3_u32 v28, v26, v31, 1                                // 00000000B84C: D1FF001C 02063F1A
	v_cndmask_b32_e64 v20, v28, v30, s[38:39]                  // 00000000B854: D1000014 009A3D1C
	v_cmp_u_f32_e64 s[38:39], v27, v27                         // 00000000B85C: D0480026 0002371B
	v_add3_u32 v28, v27, v31, 1                                // 00000000B864: D1FF001C 02063F1B
	v_cndmask_b32_e64 v21, v28, v30, s[38:39]                  // 00000000B86C: D1000015 009A3D1C
	v_perm_b32 v25, v21, v20, s52                              // 00000000B874: D1ED0019 00D22915
	ds_write_b64 v5, v[24:25] offset:3456                      // 00000000B87C: D89A0D80 00001805
	v_mov_b32_e32 v24, v198                                    // 00000000B884: 7E3003C6
	v_mov_b32_e32 v25, v202                                    // 00000000B888: 7E3203CA
	v_mov_b32_e32 v26, v206                                    // 00000000B88C: 7E3403CE
	v_mov_b32_e32 v27, v210                                    // 00000000B890: 7E3603D2
	v_cmp_u_f32_e64 s[38:39], v24, v24                         // 00000000B894: D0480026 00023118
	v_add3_u32 v28, v24, v31, 1                                // 00000000B89C: D1FF001C 02063F18
	v_cndmask_b32_e64 v20, v28, v30, s[38:39]                  // 00000000B8A4: D1000014 009A3D1C
	v_cmp_u_f32_e64 s[38:39], v25, v25                         // 00000000B8AC: D0480026 00023319
	v_add3_u32 v28, v25, v31, 1                                // 00000000B8B4: D1FF001C 02063F19
	v_cndmask_b32_e64 v21, v28, v30, s[38:39]                  // 00000000B8BC: D1000015 009A3D1C
	v_perm_b32 v24, v21, v20, s52                              // 00000000B8C4: D1ED0018 00D22915
	v_cmp_u_f32_e64 s[38:39], v26, v26                         // 00000000B8CC: D0480026 0002351A
	v_add3_u32 v28, v26, v31, 1                                // 00000000B8D4: D1FF001C 02063F1A
	v_cndmask_b32_e64 v20, v28, v30, s[38:39]                  // 00000000B8DC: D1000014 009A3D1C
	v_cmp_u_f32_e64 s[38:39], v27, v27                         // 00000000B8E4: D0480026 0002371B
	v_add3_u32 v28, v27, v31, 1                                // 00000000B8EC: D1FF001C 02063F1B
	v_cndmask_b32_e64 v21, v28, v30, s[38:39]                  // 00000000B8F4: D1000015 009A3D1C
	v_perm_b32 v25, v21, v20, s52                              // 00000000B8FC: D1ED0019 00D22915
	ds_write_b64 v5, v[24:25] offset:2448                      // 00000000B904: D89A0990 00001805
	v_mov_b32_e32 v24, v199                                    // 00000000B90C: 7E3003C7
	v_mov_b32_e32 v25, v203                                    // 00000000B910: 7E3203CB
	v_mov_b32_e32 v26, v207                                    // 00000000B914: 7E3403CF
	v_mov_b32_e32 v27, v211                                    // 00000000B918: 7E3603D3
	v_cmp_u_f32_e64 s[38:39], v24, v24                         // 00000000B91C: D0480026 00023118
	v_add3_u32 v28, v24, v31, 1                                // 00000000B924: D1FF001C 02063F18
	v_cndmask_b32_e64 v20, v28, v30, s[38:39]                  // 00000000B92C: D1000014 009A3D1C
	v_cmp_u_f32_e64 s[38:39], v25, v25                         // 00000000B934: D0480026 00023319
	v_add3_u32 v28, v25, v31, 1                                // 00000000B93C: D1FF001C 02063F19
	v_cndmask_b32_e64 v21, v28, v30, s[38:39]                  // 00000000B944: D1000015 009A3D1C
	v_perm_b32 v24, v21, v20, s52                              // 00000000B94C: D1ED0018 00D22915
	v_cmp_u_f32_e64 s[38:39], v26, v26                         // 00000000B954: D0480026 0002351A
	v_add3_u32 v28, v26, v31, 1                                // 00000000B95C: D1FF001C 02063F1A
	v_cndmask_b32_e64 v20, v28, v30, s[38:39]                  // 00000000B964: D1000014 009A3D1C
	v_cmp_u_f32_e64 s[38:39], v27, v27                         // 00000000B96C: D0480026 0002371B
	v_add3_u32 v28, v27, v31, 1                                // 00000000B974: D1FF001C 02063F1B
	v_cndmask_b32_e64 v21, v28, v30, s[38:39]                  // 00000000B97C: D1000015 009A3D1C
	v_perm_b32 v25, v21, v20, s52                              // 00000000B984: D1ED0019 00D22915
	ds_write_b64 v5, v[24:25] offset:3600                      // 00000000B98C: D89A0E10 00001805
	s_waitcnt lgkmcnt(4)                                       // 00000000B994: BF8CC47F
	ds_read_b64 v[40:41], v4                                   // 00000000B998: D8EC0000 28000004
	ds_read_b64 v[44:45], v4 offset:64                         // 00000000B9A0: D8EC0040 2C000004
	ds_read_b64 v[42:43], v4 offset:1152                       // 00000000B9A8: D8EC0480 2A000004
	ds_read_b64 v[46:47], v4 offset:1216                       // 00000000B9B0: D8EC04C0 2E000004
	s_waitcnt lgkmcnt(4)                                       // 00000000B9B8: BF8CC47F
	ds_read_b64 v[48:49], v4 offset:2304                       // 00000000B9BC: D8EC0900 30000004
	ds_read_b64 v[52:53], v4 offset:2368                       // 00000000B9C4: D8EC0940 34000004
	ds_read_b64 v[50:51], v4 offset:3456                       // 00000000B9CC: D8EC0D80 32000004
	ds_read_b64 v[54:55], v4 offset:3520                       // 00000000B9D4: D8EC0DC0 36000004
	s_waitcnt lgkmcnt(0)                                       // 00000000B9DC: BF8CC07F
	v_mov_b32_e32 v18, v19                                     // 00000000B9E0: 7E240313
	buffer_store_dwordx4 v[40:43], v18, s[8:11], 0 offen offset:256// 00000000B9E4: E07C1100 80022812
	buffer_store_dwordx4 v[48:51], v18, s[8:11], 0 offen offset:384// 00000000B9EC: E07C1180 80023012
	v_add_u32_e32 v18, 0x2000, v18                             // 00000000B9F4: 682424FF 00002000
	buffer_store_dwordx4 v[44:47], v18, s[8:11], 0 offen offset:256// 00000000B9FC: E07C1100 80022C12
	buffer_store_dwordx4 v[52:55], v18, s[8:11], 0 offen offset:384// 00000000BA04: E07C1180 80023412
	v_add_u32_e32 v18, 0x2000, v18                             // 00000000BA0C: 682424FF 00002000
	v_mov_b32_e32 v24, v212                                    // 00000000BA14: 7E3003D4
	v_mov_b32_e32 v25, v216                                    // 00000000BA18: 7E3203D8
	v_mov_b32_e32 v26, v220                                    // 00000000BA1C: 7E3403DC
	v_mov_b32_e32 v27, v224                                    // 00000000BA20: 7E3603E0
	v_cmp_u_f32_e64 s[38:39], v24, v24                         // 00000000BA24: D0480026 00023118
	v_add3_u32 v28, v24, v31, 1                                // 00000000BA2C: D1FF001C 02063F18
	v_cndmask_b32_e64 v20, v28, v30, s[38:39]                  // 00000000BA34: D1000014 009A3D1C
	v_cmp_u_f32_e64 s[38:39], v25, v25                         // 00000000BA3C: D0480026 00023319
	v_add3_u32 v28, v25, v31, 1                                // 00000000BA44: D1FF001C 02063F19
	v_cndmask_b32_e64 v21, v28, v30, s[38:39]                  // 00000000BA4C: D1000015 009A3D1C
	v_perm_b32 v24, v21, v20, s52                              // 00000000BA54: D1ED0018 00D22915
	v_cmp_u_f32_e64 s[38:39], v26, v26                         // 00000000BA5C: D0480026 0002351A
	v_add3_u32 v28, v26, v31, 1                                // 00000000BA64: D1FF001C 02063F1A
	v_cndmask_b32_e64 v20, v28, v30, s[38:39]                  // 00000000BA6C: D1000014 009A3D1C
	v_cmp_u_f32_e64 s[38:39], v27, v27                         // 00000000BA74: D0480026 0002371B
	v_add3_u32 v28, v27, v31, 1                                // 00000000BA7C: D1FF001C 02063F1B
	v_cndmask_b32_e64 v21, v28, v30, s[38:39]                  // 00000000BA84: D1000015 009A3D1C
	v_perm_b32 v25, v21, v20, s52                              // 00000000BA8C: D1ED0019 00D22915
	ds_write_b64 v5, v[24:25]                                  // 00000000BA94: D89A0000 00001805
	v_mov_b32_e32 v24, v213                                    // 00000000BA9C: 7E3003D5
	v_mov_b32_e32 v25, v217                                    // 00000000BAA0: 7E3203D9
	v_mov_b32_e32 v26, v221                                    // 00000000BAA4: 7E3403DD
	v_mov_b32_e32 v27, v225                                    // 00000000BAA8: 7E3603E1
	v_cmp_u_f32_e64 s[38:39], v24, v24                         // 00000000BAAC: D0480026 00023118
	v_add3_u32 v28, v24, v31, 1                                // 00000000BAB4: D1FF001C 02063F18
	v_cndmask_b32_e64 v20, v28, v30, s[38:39]                  // 00000000BABC: D1000014 009A3D1C
	v_cmp_u_f32_e64 s[38:39], v25, v25                         // 00000000BAC4: D0480026 00023319
	v_add3_u32 v28, v25, v31, 1                                // 00000000BACC: D1FF001C 02063F19
	v_cndmask_b32_e64 v21, v28, v30, s[38:39]                  // 00000000BAD4: D1000015 009A3D1C
	v_perm_b32 v24, v21, v20, s52                              // 00000000BADC: D1ED0018 00D22915
	v_cmp_u_f32_e64 s[38:39], v26, v26                         // 00000000BAE4: D0480026 0002351A
	v_add3_u32 v28, v26, v31, 1                                // 00000000BAEC: D1FF001C 02063F1A
	v_cndmask_b32_e64 v20, v28, v30, s[38:39]                  // 00000000BAF4: D1000014 009A3D1C
	v_cmp_u_f32_e64 s[38:39], v27, v27                         // 00000000BAFC: D0480026 0002371B
	v_add3_u32 v28, v27, v31, 1                                // 00000000BB04: D1FF001C 02063F1B
	v_cndmask_b32_e64 v21, v28, v30, s[38:39]                  // 00000000BB0C: D1000015 009A3D1C
	v_perm_b32 v25, v21, v20, s52                              // 00000000BB14: D1ED0019 00D22915
	ds_write_b64 v5, v[24:25] offset:1152                      // 00000000BB1C: D89A0480 00001805
	v_mov_b32_e32 v24, v214                                    // 00000000BB24: 7E3003D6
	v_mov_b32_e32 v25, v218                                    // 00000000BB28: 7E3203DA
	v_mov_b32_e32 v26, v222                                    // 00000000BB2C: 7E3403DE
	v_mov_b32_e32 v27, v226                                    // 00000000BB30: 7E3603E2
	v_cmp_u_f32_e64 s[38:39], v24, v24                         // 00000000BB34: D0480026 00023118
	v_add3_u32 v28, v24, v31, 1                                // 00000000BB3C: D1FF001C 02063F18
	v_cndmask_b32_e64 v20, v28, v30, s[38:39]                  // 00000000BB44: D1000014 009A3D1C
	v_cmp_u_f32_e64 s[38:39], v25, v25                         // 00000000BB4C: D0480026 00023319
	v_add3_u32 v28, v25, v31, 1                                // 00000000BB54: D1FF001C 02063F19
	v_cndmask_b32_e64 v21, v28, v30, s[38:39]                  // 00000000BB5C: D1000015 009A3D1C
	v_perm_b32 v24, v21, v20, s52                              // 00000000BB64: D1ED0018 00D22915
	v_cmp_u_f32_e64 s[38:39], v26, v26                         // 00000000BB6C: D0480026 0002351A
	v_add3_u32 v28, v26, v31, 1                                // 00000000BB74: D1FF001C 02063F1A
	v_cndmask_b32_e64 v20, v28, v30, s[38:39]                  // 00000000BB7C: D1000014 009A3D1C
	v_cmp_u_f32_e64 s[38:39], v27, v27                         // 00000000BB84: D0480026 0002371B
	v_add3_u32 v28, v27, v31, 1                                // 00000000BB8C: D1FF001C 02063F1B
	v_cndmask_b32_e64 v21, v28, v30, s[38:39]                  // 00000000BB94: D1000015 009A3D1C
	v_perm_b32 v25, v21, v20, s52                              // 00000000BB9C: D1ED0019 00D22915
	ds_write_b64 v5, v[24:25] offset:144                       // 00000000BBA4: D89A0090 00001805
	v_mov_b32_e32 v24, v215                                    // 00000000BBAC: 7E3003D7
	v_mov_b32_e32 v25, v219                                    // 00000000BBB0: 7E3203DB
	v_mov_b32_e32 v26, v223                                    // 00000000BBB4: 7E3403DF
	v_mov_b32_e32 v27, v227                                    // 00000000BBB8: 7E3603E3
	v_cmp_u_f32_e64 s[38:39], v24, v24                         // 00000000BBBC: D0480026 00023118
	v_add3_u32 v28, v24, v31, 1                                // 00000000BBC4: D1FF001C 02063F18
	v_cndmask_b32_e64 v20, v28, v30, s[38:39]                  // 00000000BBCC: D1000014 009A3D1C
	v_cmp_u_f32_e64 s[38:39], v25, v25                         // 00000000BBD4: D0480026 00023319
	v_add3_u32 v28, v25, v31, 1                                // 00000000BBDC: D1FF001C 02063F19
	v_cndmask_b32_e64 v21, v28, v30, s[38:39]                  // 00000000BBE4: D1000015 009A3D1C
	v_perm_b32 v24, v21, v20, s52                              // 00000000BBEC: D1ED0018 00D22915
	v_cmp_u_f32_e64 s[38:39], v26, v26                         // 00000000BBF4: D0480026 0002351A
	v_add3_u32 v28, v26, v31, 1                                // 00000000BBFC: D1FF001C 02063F1A
	v_cndmask_b32_e64 v20, v28, v30, s[38:39]                  // 00000000BC04: D1000014 009A3D1C
	v_cmp_u_f32_e64 s[38:39], v27, v27                         // 00000000BC0C: D0480026 0002371B
	v_add3_u32 v28, v27, v31, 1                                // 00000000BC14: D1FF001C 02063F1B
	v_cndmask_b32_e64 v21, v28, v30, s[38:39]                  // 00000000BC1C: D1000015 009A3D1C
	v_perm_b32 v25, v21, v20, s52                              // 00000000BC24: D1ED0019 00D22915
	ds_write_b64 v5, v[24:25] offset:1296                      // 00000000BC2C: D89A0510 00001805
	v_mov_b32_e32 v24, v228                                    // 00000000BC34: 7E3003E4
	v_mov_b32_e32 v25, v232                                    // 00000000BC38: 7E3203E8
	v_mov_b32_e32 v26, v236                                    // 00000000BC3C: 7E3403EC
	v_mov_b32_e32 v27, v240                                    // 00000000BC40: 7E3603F0
	v_cmp_u_f32_e64 s[38:39], v24, v24                         // 00000000BC44: D0480026 00023118
	v_add3_u32 v28, v24, v31, 1                                // 00000000BC4C: D1FF001C 02063F18
	v_cndmask_b32_e64 v20, v28, v30, s[38:39]                  // 00000000BC54: D1000014 009A3D1C
	v_cmp_u_f32_e64 s[38:39], v25, v25                         // 00000000BC5C: D0480026 00023319
	v_add3_u32 v28, v25, v31, 1                                // 00000000BC64: D1FF001C 02063F19
	v_cndmask_b32_e64 v21, v28, v30, s[38:39]                  // 00000000BC6C: D1000015 009A3D1C
	v_perm_b32 v24, v21, v20, s52                              // 00000000BC74: D1ED0018 00D22915
	v_cmp_u_f32_e64 s[38:39], v26, v26                         // 00000000BC7C: D0480026 0002351A
	v_add3_u32 v28, v26, v31, 1                                // 00000000BC84: D1FF001C 02063F1A
	v_cndmask_b32_e64 v20, v28, v30, s[38:39]                  // 00000000BC8C: D1000014 009A3D1C
	v_cmp_u_f32_e64 s[38:39], v27, v27                         // 00000000BC94: D0480026 0002371B
	v_add3_u32 v28, v27, v31, 1                                // 00000000BC9C: D1FF001C 02063F1B
	v_cndmask_b32_e64 v21, v28, v30, s[38:39]                  // 00000000BCA4: D1000015 009A3D1C
	v_perm_b32 v25, v21, v20, s52                              // 00000000BCAC: D1ED0019 00D22915
	ds_write_b64 v5, v[24:25] offset:2304                      // 00000000BCB4: D89A0900 00001805
	v_mov_b32_e32 v24, v229                                    // 00000000BCBC: 7E3003E5
	v_mov_b32_e32 v25, v233                                    // 00000000BCC0: 7E3203E9
	v_mov_b32_e32 v26, v237                                    // 00000000BCC4: 7E3403ED
	v_mov_b32_e32 v27, v241                                    // 00000000BCC8: 7E3603F1
	v_cmp_u_f32_e64 s[38:39], v24, v24                         // 00000000BCCC: D0480026 00023118
	v_add3_u32 v28, v24, v31, 1                                // 00000000BCD4: D1FF001C 02063F18
	v_cndmask_b32_e64 v20, v28, v30, s[38:39]                  // 00000000BCDC: D1000014 009A3D1C
	v_cmp_u_f32_e64 s[38:39], v25, v25                         // 00000000BCE4: D0480026 00023319
	v_add3_u32 v28, v25, v31, 1                                // 00000000BCEC: D1FF001C 02063F19
	v_cndmask_b32_e64 v21, v28, v30, s[38:39]                  // 00000000BCF4: D1000015 009A3D1C
	v_perm_b32 v24, v21, v20, s52                              // 00000000BCFC: D1ED0018 00D22915
	v_cmp_u_f32_e64 s[38:39], v26, v26                         // 00000000BD04: D0480026 0002351A
	v_add3_u32 v28, v26, v31, 1                                // 00000000BD0C: D1FF001C 02063F1A
	v_cndmask_b32_e64 v20, v28, v30, s[38:39]                  // 00000000BD14: D1000014 009A3D1C
	v_cmp_u_f32_e64 s[38:39], v27, v27                         // 00000000BD1C: D0480026 0002371B
	v_add3_u32 v28, v27, v31, 1                                // 00000000BD24: D1FF001C 02063F1B
	v_cndmask_b32_e64 v21, v28, v30, s[38:39]                  // 00000000BD2C: D1000015 009A3D1C
	v_perm_b32 v25, v21, v20, s52                              // 00000000BD34: D1ED0019 00D22915
	ds_write_b64 v5, v[24:25] offset:3456                      // 00000000BD3C: D89A0D80 00001805
	v_mov_b32_e32 v24, v230                                    // 00000000BD44: 7E3003E6
	v_mov_b32_e32 v25, v234                                    // 00000000BD48: 7E3203EA
	v_mov_b32_e32 v26, v238                                    // 00000000BD4C: 7E3403EE
	v_mov_b32_e32 v27, v242                                    // 00000000BD50: 7E3603F2
	v_cmp_u_f32_e64 s[38:39], v24, v24                         // 00000000BD54: D0480026 00023118
	v_add3_u32 v28, v24, v31, 1                                // 00000000BD5C: D1FF001C 02063F18
	v_cndmask_b32_e64 v20, v28, v30, s[38:39]                  // 00000000BD64: D1000014 009A3D1C
	v_cmp_u_f32_e64 s[38:39], v25, v25                         // 00000000BD6C: D0480026 00023319
	v_add3_u32 v28, v25, v31, 1                                // 00000000BD74: D1FF001C 02063F19
	v_cndmask_b32_e64 v21, v28, v30, s[38:39]                  // 00000000BD7C: D1000015 009A3D1C
	v_perm_b32 v24, v21, v20, s52                              // 00000000BD84: D1ED0018 00D22915
	v_cmp_u_f32_e64 s[38:39], v26, v26                         // 00000000BD8C: D0480026 0002351A
	v_add3_u32 v28, v26, v31, 1                                // 00000000BD94: D1FF001C 02063F1A
	v_cndmask_b32_e64 v20, v28, v30, s[38:39]                  // 00000000BD9C: D1000014 009A3D1C
	v_cmp_u_f32_e64 s[38:39], v27, v27                         // 00000000BDA4: D0480026 0002371B
	v_add3_u32 v28, v27, v31, 1                                // 00000000BDAC: D1FF001C 02063F1B
	v_cndmask_b32_e64 v21, v28, v30, s[38:39]                  // 00000000BDB4: D1000015 009A3D1C
	v_perm_b32 v25, v21, v20, s52                              // 00000000BDBC: D1ED0019 00D22915
	ds_write_b64 v5, v[24:25] offset:2448                      // 00000000BDC4: D89A0990 00001805
	v_mov_b32_e32 v24, v231                                    // 00000000BDCC: 7E3003E7
	v_mov_b32_e32 v25, v235                                    // 00000000BDD0: 7E3203EB
	v_mov_b32_e32 v26, v239                                    // 00000000BDD4: 7E3403EF
	v_mov_b32_e32 v27, v243                                    // 00000000BDD8: 7E3603F3
	v_cmp_u_f32_e64 s[38:39], v24, v24                         // 00000000BDDC: D0480026 00023118
	v_add3_u32 v28, v24, v31, 1                                // 00000000BDE4: D1FF001C 02063F18
	v_cndmask_b32_e64 v20, v28, v30, s[38:39]                  // 00000000BDEC: D1000014 009A3D1C
	v_cmp_u_f32_e64 s[38:39], v25, v25                         // 00000000BDF4: D0480026 00023319
	v_add3_u32 v28, v25, v31, 1                                // 00000000BDFC: D1FF001C 02063F19
	v_cndmask_b32_e64 v21, v28, v30, s[38:39]                  // 00000000BE04: D1000015 009A3D1C
	v_perm_b32 v24, v21, v20, s52                              // 00000000BE0C: D1ED0018 00D22915
	v_cmp_u_f32_e64 s[38:39], v26, v26                         // 00000000BE14: D0480026 0002351A
	v_add3_u32 v28, v26, v31, 1                                // 00000000BE1C: D1FF001C 02063F1A
	v_cndmask_b32_e64 v20, v28, v30, s[38:39]                  // 00000000BE24: D1000014 009A3D1C
	v_cmp_u_f32_e64 s[38:39], v27, v27                         // 00000000BE2C: D0480026 0002371B
	v_add3_u32 v28, v27, v31, 1                                // 00000000BE34: D1FF001C 02063F1B
	v_cndmask_b32_e64 v21, v28, v30, s[38:39]                  // 00000000BE3C: D1000015 009A3D1C
	v_perm_b32 v25, v21, v20, s52                              // 00000000BE44: D1ED0019 00D22915
	ds_write_b64 v5, v[24:25] offset:3600                      // 00000000BE4C: D89A0E10 00001805
	s_waitcnt lgkmcnt(4)                                       // 00000000BE54: BF8CC47F
	ds_read_b64 v[40:41], v4                                   // 00000000BE58: D8EC0000 28000004
	ds_read_b64 v[44:45], v4 offset:64                         // 00000000BE60: D8EC0040 2C000004
	ds_read_b64 v[42:43], v4 offset:1152                       // 00000000BE68: D8EC0480 2A000004
	ds_read_b64 v[46:47], v4 offset:1216                       // 00000000BE70: D8EC04C0 2E000004
	s_waitcnt lgkmcnt(4)                                       // 00000000BE78: BF8CC47F
	ds_read_b64 v[48:49], v4 offset:2304                       // 00000000BE7C: D8EC0900 30000004
	ds_read_b64 v[52:53], v4 offset:2368                       // 00000000BE84: D8EC0940 34000004
	ds_read_b64 v[50:51], v4 offset:3456                       // 00000000BE8C: D8EC0D80 32000004
	ds_read_b64 v[54:55], v4 offset:3520                       // 00000000BE94: D8EC0DC0 36000004
	s_waitcnt lgkmcnt(0)                                       // 00000000BE9C: BF8CC07F
	v_mov_b32_e32 v18, v19                                     // 00000000BEA0: 7E240313
	buffer_store_dwordx4 v[40:43], v18, s[8:11], 0 offen offset:512// 00000000BEA4: E07C1200 80022812
	buffer_store_dwordx4 v[48:51], v18, s[8:11], 0 offen offset:640// 00000000BEAC: E07C1280 80023012
	v_add_u32_e32 v18, 0x2000, v18                             // 00000000BEB4: 682424FF 00002000
	buffer_store_dwordx4 v[44:47], v18, s[8:11], 0 offen offset:512// 00000000BEBC: E07C1200 80022C12
	buffer_store_dwordx4 v[52:55], v18, s[8:11], 0 offen offset:640// 00000000BEC4: E07C1280 80023412
	v_add_u32_e32 v18, 0x2000, v18                             // 00000000BECC: 682424FF 00002000
	v_mov_b32_e32 v24, v244                                    // 00000000BED4: 7E3003F4
	v_mov_b32_e32 v25, v248                                    // 00000000BED8: 7E3203F8
	v_mov_b32_e32 v26, v252                                    // 00000000BEDC: 7E3403FC
	v_accvgpr_read_b32 v27, a236                               // 00000000BEE0: D3D8401B 180001EC
	v_cmp_u_f32_e64 s[38:39], v24, v24                         // 00000000BEE8: D0480026 00023118
	v_add3_u32 v28, v24, v31, 1                                // 00000000BEF0: D1FF001C 02063F18
	v_cndmask_b32_e64 v20, v28, v30, s[38:39]                  // 00000000BEF8: D1000014 009A3D1C
	v_cmp_u_f32_e64 s[38:39], v25, v25                         // 00000000BF00: D0480026 00023319
	v_add3_u32 v28, v25, v31, 1                                // 00000000BF08: D1FF001C 02063F19
	v_cndmask_b32_e64 v21, v28, v30, s[38:39]                  // 00000000BF10: D1000015 009A3D1C
	v_perm_b32 v24, v21, v20, s52                              // 00000000BF18: D1ED0018 00D22915
	v_cmp_u_f32_e64 s[38:39], v26, v26                         // 00000000BF20: D0480026 0002351A
	v_add3_u32 v28, v26, v31, 1                                // 00000000BF28: D1FF001C 02063F1A
	v_cndmask_b32_e64 v20, v28, v30, s[38:39]                  // 00000000BF30: D1000014 009A3D1C
	v_cmp_u_f32_e64 s[38:39], v27, v27                         // 00000000BF38: D0480026 0002371B
	v_add3_u32 v28, v27, v31, 1                                // 00000000BF40: D1FF001C 02063F1B
	v_cndmask_b32_e64 v21, v28, v30, s[38:39]                  // 00000000BF48: D1000015 009A3D1C
	v_perm_b32 v25, v21, v20, s52                              // 00000000BF50: D1ED0019 00D22915
	ds_write_b64 v5, v[24:25]                                  // 00000000BF58: D89A0000 00001805
	v_mov_b32_e32 v24, v245                                    // 00000000BF60: 7E3003F5
	v_mov_b32_e32 v25, v249                                    // 00000000BF64: 7E3203F9
	v_mov_b32_e32 v26, v253                                    // 00000000BF68: 7E3403FD
	v_accvgpr_read_b32 v27, a237                               // 00000000BF6C: D3D8401B 180001ED
	v_cmp_u_f32_e64 s[38:39], v24, v24                         // 00000000BF74: D0480026 00023118
	v_add3_u32 v28, v24, v31, 1                                // 00000000BF7C: D1FF001C 02063F18
	v_cndmask_b32_e64 v20, v28, v30, s[38:39]                  // 00000000BF84: D1000014 009A3D1C
	v_cmp_u_f32_e64 s[38:39], v25, v25                         // 00000000BF8C: D0480026 00023319
	v_add3_u32 v28, v25, v31, 1                                // 00000000BF94: D1FF001C 02063F19
	v_cndmask_b32_e64 v21, v28, v30, s[38:39]                  // 00000000BF9C: D1000015 009A3D1C
	v_perm_b32 v24, v21, v20, s52                              // 00000000BFA4: D1ED0018 00D22915
	v_cmp_u_f32_e64 s[38:39], v26, v26                         // 00000000BFAC: D0480026 0002351A
	v_add3_u32 v28, v26, v31, 1                                // 00000000BFB4: D1FF001C 02063F1A
	v_cndmask_b32_e64 v20, v28, v30, s[38:39]                  // 00000000BFBC: D1000014 009A3D1C
	v_cmp_u_f32_e64 s[38:39], v27, v27                         // 00000000BFC4: D0480026 0002371B
	v_add3_u32 v28, v27, v31, 1                                // 00000000BFCC: D1FF001C 02063F1B
	v_cndmask_b32_e64 v21, v28, v30, s[38:39]                  // 00000000BFD4: D1000015 009A3D1C
	v_perm_b32 v25, v21, v20, s52                              // 00000000BFDC: D1ED0019 00D22915
	ds_write_b64 v5, v[24:25] offset:1152                      // 00000000BFE4: D89A0480 00001805
	v_mov_b32_e32 v24, v246                                    // 00000000BFEC: 7E3003F6
	v_mov_b32_e32 v25, v250                                    // 00000000BFF0: 7E3203FA
	v_mov_b32_e32 v26, v254                                    // 00000000BFF4: 7E3403FE
	v_accvgpr_read_b32 v27, a238                               // 00000000BFF8: D3D8401B 180001EE
	v_cmp_u_f32_e64 s[38:39], v24, v24                         // 00000000C000: D0480026 00023118
	v_add3_u32 v28, v24, v31, 1                                // 00000000C008: D1FF001C 02063F18
	v_cndmask_b32_e64 v20, v28, v30, s[38:39]                  // 00000000C010: D1000014 009A3D1C
	v_cmp_u_f32_e64 s[38:39], v25, v25                         // 00000000C018: D0480026 00023319
	v_add3_u32 v28, v25, v31, 1                                // 00000000C020: D1FF001C 02063F19
	v_cndmask_b32_e64 v21, v28, v30, s[38:39]                  // 00000000C028: D1000015 009A3D1C
	v_perm_b32 v24, v21, v20, s52                              // 00000000C030: D1ED0018 00D22915
	v_cmp_u_f32_e64 s[38:39], v26, v26                         // 00000000C038: D0480026 0002351A
	v_add3_u32 v28, v26, v31, 1                                // 00000000C040: D1FF001C 02063F1A
	v_cndmask_b32_e64 v20, v28, v30, s[38:39]                  // 00000000C048: D1000014 009A3D1C
	v_cmp_u_f32_e64 s[38:39], v27, v27                         // 00000000C050: D0480026 0002371B
	v_add3_u32 v28, v27, v31, 1                                // 00000000C058: D1FF001C 02063F1B
	v_cndmask_b32_e64 v21, v28, v30, s[38:39]                  // 00000000C060: D1000015 009A3D1C
	v_perm_b32 v25, v21, v20, s52                              // 00000000C068: D1ED0019 00D22915
	ds_write_b64 v5, v[24:25] offset:144                       // 00000000C070: D89A0090 00001805
	v_mov_b32_e32 v24, v247                                    // 00000000C078: 7E3003F7
	v_mov_b32_e32 v25, v251                                    // 00000000C07C: 7E3203FB
	v_mov_b32_e32 v26, v255                                    // 00000000C080: 7E3403FF
	v_accvgpr_read_b32 v27, a239                               // 00000000C084: D3D8401B 180001EF
	v_cmp_u_f32_e64 s[38:39], v24, v24                         // 00000000C08C: D0480026 00023118
	v_add3_u32 v28, v24, v31, 1                                // 00000000C094: D1FF001C 02063F18
	v_cndmask_b32_e64 v20, v28, v30, s[38:39]                  // 00000000C09C: D1000014 009A3D1C
	v_cmp_u_f32_e64 s[38:39], v25, v25                         // 00000000C0A4: D0480026 00023319
	v_add3_u32 v28, v25, v31, 1                                // 00000000C0AC: D1FF001C 02063F19
	v_cndmask_b32_e64 v21, v28, v30, s[38:39]                  // 00000000C0B4: D1000015 009A3D1C
	v_perm_b32 v24, v21, v20, s52                              // 00000000C0BC: D1ED0018 00D22915
	v_cmp_u_f32_e64 s[38:39], v26, v26                         // 00000000C0C4: D0480026 0002351A
	v_add3_u32 v28, v26, v31, 1                                // 00000000C0CC: D1FF001C 02063F1A
	v_cndmask_b32_e64 v20, v28, v30, s[38:39]                  // 00000000C0D4: D1000014 009A3D1C
	v_cmp_u_f32_e64 s[38:39], v27, v27                         // 00000000C0DC: D0480026 0002371B
	v_add3_u32 v28, v27, v31, 1                                // 00000000C0E4: D1FF001C 02063F1B
	v_cndmask_b32_e64 v21, v28, v30, s[38:39]                  // 00000000C0EC: D1000015 009A3D1C
	v_perm_b32 v25, v21, v20, s52                              // 00000000C0F4: D1ED0019 00D22915
	ds_write_b64 v5, v[24:25] offset:1296                      // 00000000C0FC: D89A0510 00001805
	v_accvgpr_read_b32 v24, a240                               // 00000000C104: D3D84018 180001F0
	v_accvgpr_read_b32 v25, a244                               // 00000000C10C: D3D84019 180001F4
	v_accvgpr_read_b32 v26, a248                               // 00000000C114: D3D8401A 180001F8
	v_accvgpr_read_b32 v27, a252                               // 00000000C11C: D3D8401B 180001FC
	v_cmp_u_f32_e64 s[38:39], v24, v24                         // 00000000C124: D0480026 00023118
	v_add3_u32 v28, v24, v31, 1                                // 00000000C12C: D1FF001C 02063F18
	v_cndmask_b32_e64 v20, v28, v30, s[38:39]                  // 00000000C134: D1000014 009A3D1C
	v_cmp_u_f32_e64 s[38:39], v25, v25                         // 00000000C13C: D0480026 00023319
	v_add3_u32 v28, v25, v31, 1                                // 00000000C144: D1FF001C 02063F19
	v_cndmask_b32_e64 v21, v28, v30, s[38:39]                  // 00000000C14C: D1000015 009A3D1C
	v_perm_b32 v24, v21, v20, s52                              // 00000000C154: D1ED0018 00D22915
	v_cmp_u_f32_e64 s[38:39], v26, v26                         // 00000000C15C: D0480026 0002351A
	v_add3_u32 v28, v26, v31, 1                                // 00000000C164: D1FF001C 02063F1A
	v_cndmask_b32_e64 v20, v28, v30, s[38:39]                  // 00000000C16C: D1000014 009A3D1C
	v_cmp_u_f32_e64 s[38:39], v27, v27                         // 00000000C174: D0480026 0002371B
	v_add3_u32 v28, v27, v31, 1                                // 00000000C17C: D1FF001C 02063F1B
	v_cndmask_b32_e64 v21, v28, v30, s[38:39]                  // 00000000C184: D1000015 009A3D1C
	v_perm_b32 v25, v21, v20, s52                              // 00000000C18C: D1ED0019 00D22915
	ds_write_b64 v5, v[24:25] offset:2304                      // 00000000C194: D89A0900 00001805
	v_accvgpr_read_b32 v24, a241                               // 00000000C19C: D3D84018 180001F1
	v_accvgpr_read_b32 v25, a245                               // 00000000C1A4: D3D84019 180001F5
	v_accvgpr_read_b32 v26, a249                               // 00000000C1AC: D3D8401A 180001F9
	v_accvgpr_read_b32 v27, a253                               // 00000000C1B4: D3D8401B 180001FD
	v_cmp_u_f32_e64 s[38:39], v24, v24                         // 00000000C1BC: D0480026 00023118
	v_add3_u32 v28, v24, v31, 1                                // 00000000C1C4: D1FF001C 02063F18
	v_cndmask_b32_e64 v20, v28, v30, s[38:39]                  // 00000000C1CC: D1000014 009A3D1C
	v_cmp_u_f32_e64 s[38:39], v25, v25                         // 00000000C1D4: D0480026 00023319
	v_add3_u32 v28, v25, v31, 1                                // 00000000C1DC: D1FF001C 02063F19
	v_cndmask_b32_e64 v21, v28, v30, s[38:39]                  // 00000000C1E4: D1000015 009A3D1C
	v_perm_b32 v24, v21, v20, s52                              // 00000000C1EC: D1ED0018 00D22915
	v_cmp_u_f32_e64 s[38:39], v26, v26                         // 00000000C1F4: D0480026 0002351A
	v_add3_u32 v28, v26, v31, 1                                // 00000000C1FC: D1FF001C 02063F1A
	v_cndmask_b32_e64 v20, v28, v30, s[38:39]                  // 00000000C204: D1000014 009A3D1C
	v_cmp_u_f32_e64 s[38:39], v27, v27                         // 00000000C20C: D0480026 0002371B
	v_add3_u32 v28, v27, v31, 1                                // 00000000C214: D1FF001C 02063F1B
	v_cndmask_b32_e64 v21, v28, v30, s[38:39]                  // 00000000C21C: D1000015 009A3D1C
	v_perm_b32 v25, v21, v20, s52                              // 00000000C224: D1ED0019 00D22915
	ds_write_b64 v5, v[24:25] offset:3456                      // 00000000C22C: D89A0D80 00001805
	v_accvgpr_read_b32 v24, a242                               // 00000000C234: D3D84018 180001F2
	v_accvgpr_read_b32 v25, a246                               // 00000000C23C: D3D84019 180001F6
	v_accvgpr_read_b32 v26, a250                               // 00000000C244: D3D8401A 180001FA
	v_accvgpr_read_b32 v27, a254                               // 00000000C24C: D3D8401B 180001FE
	v_cmp_u_f32_e64 s[38:39], v24, v24                         // 00000000C254: D0480026 00023118
	v_add3_u32 v28, v24, v31, 1                                // 00000000C25C: D1FF001C 02063F18
	v_cndmask_b32_e64 v20, v28, v30, s[38:39]                  // 00000000C264: D1000014 009A3D1C
	v_cmp_u_f32_e64 s[38:39], v25, v25                         // 00000000C26C: D0480026 00023319
	v_add3_u32 v28, v25, v31, 1                                // 00000000C274: D1FF001C 02063F19
	v_cndmask_b32_e64 v21, v28, v30, s[38:39]                  // 00000000C27C: D1000015 009A3D1C
	v_perm_b32 v24, v21, v20, s52                              // 00000000C284: D1ED0018 00D22915
	v_cmp_u_f32_e64 s[38:39], v26, v26                         // 00000000C28C: D0480026 0002351A
	v_add3_u32 v28, v26, v31, 1                                // 00000000C294: D1FF001C 02063F1A
	v_cndmask_b32_e64 v20, v28, v30, s[38:39]                  // 00000000C29C: D1000014 009A3D1C
	v_cmp_u_f32_e64 s[38:39], v27, v27                         // 00000000C2A4: D0480026 0002371B
	v_add3_u32 v28, v27, v31, 1                                // 00000000C2AC: D1FF001C 02063F1B
	v_cndmask_b32_e64 v21, v28, v30, s[38:39]                  // 00000000C2B4: D1000015 009A3D1C
	v_perm_b32 v25, v21, v20, s52                              // 00000000C2BC: D1ED0019 00D22915
	ds_write_b64 v5, v[24:25] offset:2448                      // 00000000C2C4: D89A0990 00001805
	v_accvgpr_read_b32 v24, a243                               // 00000000C2CC: D3D84018 180001F3
	v_accvgpr_read_b32 v25, a247                               // 00000000C2D4: D3D84019 180001F7
	v_accvgpr_read_b32 v26, a251                               // 00000000C2DC: D3D8401A 180001FB
	v_accvgpr_read_b32 v27, a255                               // 00000000C2E4: D3D8401B 180001FF
	v_cmp_u_f32_e64 s[38:39], v24, v24                         // 00000000C2EC: D0480026 00023118
	v_add3_u32 v28, v24, v31, 1                                // 00000000C2F4: D1FF001C 02063F18
	v_cndmask_b32_e64 v20, v28, v30, s[38:39]                  // 00000000C2FC: D1000014 009A3D1C
	v_cmp_u_f32_e64 s[38:39], v25, v25                         // 00000000C304: D0480026 00023319
	v_add3_u32 v28, v25, v31, 1                                // 00000000C30C: D1FF001C 02063F19
	v_cndmask_b32_e64 v21, v28, v30, s[38:39]                  // 00000000C314: D1000015 009A3D1C
	v_perm_b32 v24, v21, v20, s52                              // 00000000C31C: D1ED0018 00D22915
	v_cmp_u_f32_e64 s[38:39], v26, v26                         // 00000000C324: D0480026 0002351A
	v_add3_u32 v28, v26, v31, 1                                // 00000000C32C: D1FF001C 02063F1A
	v_cndmask_b32_e64 v20, v28, v30, s[38:39]                  // 00000000C334: D1000014 009A3D1C
	v_cmp_u_f32_e64 s[38:39], v27, v27                         // 00000000C33C: D0480026 0002371B
	v_add3_u32 v28, v27, v31, 1                                // 00000000C344: D1FF001C 02063F1B
	v_cndmask_b32_e64 v21, v28, v30, s[38:39]                  // 00000000C34C: D1000015 009A3D1C
	v_perm_b32 v25, v21, v20, s52                              // 00000000C354: D1ED0019 00D22915
	ds_write_b64 v5, v[24:25] offset:3600                      // 00000000C35C: D89A0E10 00001805
	s_waitcnt lgkmcnt(4)                                       // 00000000C364: BF8CC47F
	ds_read_b64 v[40:41], v4                                   // 00000000C368: D8EC0000 28000004
	ds_read_b64 v[44:45], v4 offset:64                         // 00000000C370: D8EC0040 2C000004
	ds_read_b64 v[42:43], v4 offset:1152                       // 00000000C378: D8EC0480 2A000004
	ds_read_b64 v[46:47], v4 offset:1216                       // 00000000C380: D8EC04C0 2E000004
	s_waitcnt lgkmcnt(4)                                       // 00000000C388: BF8CC47F
	ds_read_b64 v[48:49], v4 offset:2304                       // 00000000C38C: D8EC0900 30000004
	ds_read_b64 v[52:53], v4 offset:2368                       // 00000000C394: D8EC0940 34000004
	ds_read_b64 v[50:51], v4 offset:3456                       // 00000000C39C: D8EC0D80 32000004
	ds_read_b64 v[54:55], v4 offset:3520                       // 00000000C3A4: D8EC0DC0 36000004
	s_waitcnt lgkmcnt(0)                                       // 00000000C3AC: BF8CC07F
	v_mov_b32_e32 v18, v19                                     // 00000000C3B0: 7E240313
	buffer_store_dwordx4 v[40:43], v18, s[8:11], 0 offen offset:768// 00000000C3B4: E07C1300 80022812
	buffer_store_dwordx4 v[48:51], v18, s[8:11], 0 offen offset:896// 00000000C3BC: E07C1380 80023012
	v_add_u32_e32 v18, 0x2000, v18                             // 00000000C3C4: 682424FF 00002000
	buffer_store_dwordx4 v[44:47], v18, s[8:11], 0 offen offset:768// 00000000C3CC: E07C1300 80022C12
	buffer_store_dwordx4 v[52:55], v18, s[8:11], 0 offen offset:896// 00000000C3D4: E07C1380 80023412
	v_add_u32_e32 v18, 0x2000, v18                             // 00000000C3DC: 682424FF 00002000
	s_branch label_3059                                        // 00000000C3E4: BF82035F

000000000000c3e8 <label_2CFA>:
	s_mul_i32 s76, s67, s75                                    // 00000000C3E8: 924C4B43
	s_add_u32 s56, s80, s79                                    // 00000000C3EC: 80384F50
	v_mov_b32_e32 v20, s56                                     // 00000000C3F0: 7E280238
	v_mul_lo_u32 v21, s76, v20                                 // 00000000C3F4: D2850015 0002284C
	v_mul_hi_u32 v22, s76, v20                                 // 00000000C3FC: D2860016 0002284C
	s_nop 2                                                    // 00000000C404: BF800002
	v_readfirstlane_b32 s56, v21                               // 00000000C408: 7E700515
	v_readfirstlane_b32 s57, v22                               // 00000000C40C: 7E720516
	s_nop 4                                                    // 00000000C410: BF800004
	s_add_u32 s8, s56, s8                                      // 00000000C414: 80080838
	s_addc_u32 s9, s57, s9                                     // 00000000C418: 82090939
	s_sub_u32 s56, s81, s80                                    // 00000000C41C: 80B85051
	s_mul_i32 s56, s56, s76                                    // 00000000C420: 92384C38
	s_mov_b32 s10, s56                                         // 00000000C424: BE8A0038
	v_and_b32_e32 v20, 15, v0                                  // 00000000C428: 2628008F
	v_lshlrev_b32_e32 v18, 4, v20                              // 00000000C42C: 24242884
	v_lshrrev_b32_e32 v20, 4, v0                               // 00000000C430: 20280084
	v_mul_i32_i24_e32 v20, 0x800, v20                          // 00000000C434: 0C2828FF 00000800
	v_add_u32_e32 v18, v18, v20                                // 00000000C43C: 68242912
	s_mul_i32 s56, s4, s75                                     // 00000000C440: 92384B04
	v_add_u32_e64 v18, v18, s56                                // 00000000C444: D1340012 00007112
	s_mul_i32 s56, s7, 0x8000                                  // 00000000C44C: 9238FF07 00008000
	v_add_u32_e64 v18, v18, s56                                // 00000000C454: D1340012 00007112
	v_mov_b32_e32 v19, v18                                     // 00000000C45C: 7E260312
	s_mul_i32 s58, 4, s65                                      // 00000000C460: 923A4184
	s_mul_i32 s77, s67, s58                                    // 00000000C464: 924D3A43
	s_add_u32 s56, s80, s79                                    // 00000000C468: 80384F50
	s_mul_i32 s56, s56, s77                                    // 00000000C46C: 92384D38
	s_add_u32 s12, s56, s12                                    // 00000000C470: 800C0C38
	s_addc_u32 s13, 0, s13                                     // 00000000C474: 820D0D80
	s_sub_u32 s56, s81, s80                                    // 00000000C478: 80B85051
	s_mul_i32 s56, s56, s77                                    // 00000000C47C: 92384D38
	s_mov_b32 s14, s56                                         // 00000000C480: BE8E0038
	v_and_b32_e32 v26, 15, v0                                  // 00000000C484: 2634008F
	v_lshlrev_b32_e32 v26, 2, v26                              // 00000000C488: 24343482
	s_mul_i32 s56, s4, s58                                     // 00000000C48C: 92383A04
	v_add_u32_e64 v26, v26, s56                                // 00000000C490: D134001A 0000711A
	s_mul_i32 s56, s7, 64                                      // 00000000C498: 9238C007
	v_add_u32_e64 v26, v26, s56                                // 00000000C49C: D134001A 0000711A
	s_waitcnt vmcnt(0) lgkmcnt(0)                              // 00000000C4A4: BF8C0070
	s_barrier                                                  // 00000000C4A8: BF8A0000
	v_lshlrev_b32_e32 v5, 2, v0                                // 00000000C4AC: 240A0082
	s_mul_i32 s56, s7, 0x840                                   // 00000000C4B0: 9238FF07 00000840
	v_add_u32_e32 v5, s56, v5                                  // 00000000C4B8: 680A0A38
	v_lshlrev_b32_e32 v5, 2, v5                                // 00000000C4BC: 240A0A82
	v_lshrrev_b32_e32 v20, 4, v0                               // 00000000C4C0: 20280084
	v_mul_i32_i24_e32 v4, 4, v20                               // 00000000C4C4: 0C082884
	v_and_b32_e32 v20, 3, v0                                   // 00000000C4C8: 26280083
	v_mul_i32_i24_e32 v20, 0x108, v20                          // 00000000C4CC: 0C2828FF 00000108
	v_add_u32_e32 v4, v20, v4                                  // 00000000C4D4: 68080914
	v_and_b32_e32 v20, 15, v0                                  // 00000000C4D8: 2628008F
	v_lshrrev_b32_e32 v20, 2, v20                              // 00000000C4DC: 20282882
	v_mul_i32_i24_e32 v20, 64, v20                             // 00000000C4E0: 0C2828C0
	v_add_u32_e32 v4, v20, v4                                  // 00000000C4E4: 68080914
	s_mul_i32 s56, s7, 0x840                                   // 00000000C4E8: 9238FF07 00000840
	v_add_u32_e32 v4, s56, v4                                  // 00000000C4F0: 68080838
	v_lshlrev_b32_e32 v4, 2, v4                                // 00000000C4F4: 24080882
	s_mov_b32 s56, 0                                           // 00000000C4F8: BEB80080
	v_add_u32_e64 v19, v19, s56                                // 00000000C4FC: D1340013 00007113
	v_mov_b32_e32 v20, v40                                     // 00000000C504: 7E280328
	v_mov_b32_e32 v21, v44                                     // 00000000C508: 7E2A032C
	v_mov_b32_e32 v22, v48                                     // 00000000C50C: 7E2C0330
	v_mov_b32_e32 v23, v52                                     // 00000000C510: 7E2E0334
	ds_write_b128 v5, v[20:23]                                 // 00000000C514: D9BE0000 00001405
	v_mov_b32_e32 v20, v41                                     // 00000000C51C: 7E280329
	v_mov_b32_e32 v21, v45                                     // 00000000C520: 7E2A032D
	v_mov_b32_e32 v22, v49                                     // 00000000C524: 7E2C0331
	v_mov_b32_e32 v23, v53                                     // 00000000C528: 7E2E0335
	ds_write_b128 v5, v[20:23] offset:1056                     // 00000000C52C: D9BE0420 00001405
	v_mov_b32_e32 v20, v42                                     // 00000000C534: 7E28032A
	v_mov_b32_e32 v21, v46                                     // 00000000C538: 7E2A032E
	v_mov_b32_e32 v22, v50                                     // 00000000C53C: 7E2C0332
	v_mov_b32_e32 v23, v54                                     // 00000000C540: 7E2E0336
	ds_write_b128 v5, v[20:23] offset:2112                     // 00000000C544: D9BE0840 00001405
	v_mov_b32_e32 v20, v43                                     // 00000000C54C: 7E28032B
	v_mov_b32_e32 v21, v47                                     // 00000000C550: 7E2A032F
	v_mov_b32_e32 v22, v51                                     // 00000000C554: 7E2C0333
	v_mov_b32_e32 v23, v55                                     // 00000000C558: 7E2E0337
	ds_write_b128 v5, v[20:23] offset:3168                     // 00000000C55C: D9BE0C60 00001405
	v_mov_b32_e32 v20, v56                                     // 00000000C564: 7E280338
	v_mov_b32_e32 v21, v60                                     // 00000000C568: 7E2A033C
	v_mov_b32_e32 v22, v64                                     // 00000000C56C: 7E2C0340
	v_mov_b32_e32 v23, v68                                     // 00000000C570: 7E2E0344
	ds_write_b128 v5, v[20:23] offset:4224                     // 00000000C574: D9BE1080 00001405
	v_mov_b32_e32 v20, v57                                     // 00000000C57C: 7E280339
	v_mov_b32_e32 v21, v61                                     // 00000000C580: 7E2A033D
	v_mov_b32_e32 v22, v65                                     // 00000000C584: 7E2C0341
	v_mov_b32_e32 v23, v69                                     // 00000000C588: 7E2E0345
	ds_write_b128 v5, v[20:23] offset:5280                     // 00000000C58C: D9BE14A0 00001405
	v_mov_b32_e32 v20, v58                                     // 00000000C594: 7E28033A
	v_mov_b32_e32 v21, v62                                     // 00000000C598: 7E2A033E
	v_mov_b32_e32 v22, v66                                     // 00000000C59C: 7E2C0342
	v_mov_b32_e32 v23, v70                                     // 00000000C5A0: 7E2E0346
	ds_write_b128 v5, v[20:23] offset:6336                     // 00000000C5A4: D9BE18C0 00001405
	v_mov_b32_e32 v20, v59                                     // 00000000C5AC: 7E28033B
	v_mov_b32_e32 v21, v63                                     // 00000000C5B0: 7E2A033F
	v_mov_b32_e32 v22, v67                                     // 00000000C5B4: 7E2C0343
	v_mov_b32_e32 v23, v71                                     // 00000000C5B8: 7E2E0347
	ds_write_b128 v5, v[20:23] offset:7392                     // 00000000C5BC: D9BE1CE0 00001405
	s_waitcnt lgkmcnt(4)                                       // 00000000C5C4: BF8CC47F
	ds_read_b128 v[40:43], v4                                  // 00000000C5C8: D9FE0000 28000004
	ds_read_b128 v[44:47], v4 offset:64                        // 00000000C5D0: D9FE0040 2C000004
	ds_read_b128 v[48:51], v4 offset:128                       // 00000000C5D8: D9FE0080 30000004
	ds_read_b128 v[52:55], v4 offset:192                       // 00000000C5E0: D9FE00C0 34000004
	s_waitcnt lgkmcnt(4)                                       // 00000000C5E8: BF8CC47F
	ds_read_b128 v[56:59], v4 offset:4224                      // 00000000C5EC: D9FE1080 38000004
	ds_read_b128 v[60:63], v4 offset:4288                      // 00000000C5F4: D9FE10C0 3C000004
	ds_read_b128 v[64:67], v4 offset:4352                      // 00000000C5FC: D9FE1100 40000004
	ds_read_b128 v[68:71], v4 offset:4416                      // 00000000C604: D9FE1140 44000004
	s_waitcnt lgkmcnt(0)                                       // 00000000C60C: BF8CC07F
	v_mov_b32_e32 v18, v19                                     // 00000000C610: 7E240313
	buffer_store_dwordx4 v[40:43], v18, s[8:11], 0 offen       // 00000000C614: E07C1000 80022812
	buffer_store_dwordx4 v[56:59], v18, s[8:11], 0 offen offset:256// 00000000C61C: E07C1100 80023812
	v_add_u32_e32 v18, 0x2000, v18                             // 00000000C624: 682424FF 00002000
	buffer_store_dwordx4 v[44:47], v18, s[8:11], 0 offen       // 00000000C62C: E07C1000 80022C12
	buffer_store_dwordx4 v[60:63], v18, s[8:11], 0 offen offset:256// 00000000C634: E07C1100 80023C12
	v_add_u32_e32 v18, 0x2000, v18                             // 00000000C63C: 682424FF 00002000
	buffer_store_dwordx4 v[48:51], v18, s[8:11], 0 offen       // 00000000C644: E07C1000 80023012
	buffer_store_dwordx4 v[64:67], v18, s[8:11], 0 offen offset:256// 00000000C64C: E07C1100 80024012
	v_add_u32_e32 v18, 0x2000, v18                             // 00000000C654: 682424FF 00002000
	buffer_store_dwordx4 v[52:55], v18, s[8:11], 0 offen       // 00000000C65C: E07C1000 80023412
	buffer_store_dwordx4 v[68:71], v18, s[8:11], 0 offen offset:256// 00000000C664: E07C1100 80024412
	v_add_u32_e32 v18, 0x2000, v18                             // 00000000C66C: 682424FF 00002000
	v_mov_b32_e32 v20, v72                                     // 00000000C674: 7E280348
	v_mov_b32_e32 v21, v76                                     // 00000000C678: 7E2A034C
	v_mov_b32_e32 v22, v80                                     // 00000000C67C: 7E2C0350
	v_mov_b32_e32 v23, v84                                     // 00000000C680: 7E2E0354
	ds_write_b128 v5, v[20:23]                                 // 00000000C684: D9BE0000 00001405
	v_mov_b32_e32 v20, v73                                     // 00000000C68C: 7E280349
	v_mov_b32_e32 v21, v77                                     // 00000000C690: 7E2A034D
	v_mov_b32_e32 v22, v81                                     // 00000000C694: 7E2C0351
	v_mov_b32_e32 v23, v85                                     // 00000000C698: 7E2E0355
	ds_write_b128 v5, v[20:23] offset:1056                     // 00000000C69C: D9BE0420 00001405
	v_mov_b32_e32 v20, v74                                     // 00000000C6A4: 7E28034A
	v_mov_b32_e32 v21, v78                                     // 00000000C6A8: 7E2A034E
	v_mov_b32_e32 v22, v82                                     // 00000000C6AC: 7E2C0352
	v_mov_b32_e32 v23, v86                                     // 00000000C6B0: 7E2E0356
	ds_write_b128 v5, v[20:23] offset:2112                     // 00000000C6B4: D9BE0840 00001405
	v_mov_b32_e32 v20, v75                                     // 00000000C6BC: 7E28034B
	v_mov_b32_e32 v21, v79                                     // 00000000C6C0: 7E2A034F
	v_mov_b32_e32 v22, v83                                     // 00000000C6C4: 7E2C0353
	v_mov_b32_e32 v23, v87                                     // 00000000C6C8: 7E2E0357
	ds_write_b128 v5, v[20:23] offset:3168                     // 00000000C6CC: D9BE0C60 00001405
	v_mov_b32_e32 v20, v88                                     // 00000000C6D4: 7E280358
	v_mov_b32_e32 v21, v92                                     // 00000000C6D8: 7E2A035C
	v_mov_b32_e32 v22, v96                                     // 00000000C6DC: 7E2C0360
	v_mov_b32_e32 v23, v100                                    // 00000000C6E0: 7E2E0364
	ds_write_b128 v5, v[20:23] offset:4224                     // 00000000C6E4: D9BE1080 00001405
	v_mov_b32_e32 v20, v89                                     // 00000000C6EC: 7E280359
	v_mov_b32_e32 v21, v93                                     // 00000000C6F0: 7E2A035D
	v_mov_b32_e32 v22, v97                                     // 00000000C6F4: 7E2C0361
	v_mov_b32_e32 v23, v101                                    // 00000000C6F8: 7E2E0365
	ds_write_b128 v5, v[20:23] offset:5280                     // 00000000C6FC: D9BE14A0 00001405
	v_mov_b32_e32 v20, v90                                     // 00000000C704: 7E28035A
	v_mov_b32_e32 v21, v94                                     // 00000000C708: 7E2A035E
	v_mov_b32_e32 v22, v98                                     // 00000000C70C: 7E2C0362
	v_mov_b32_e32 v23, v102                                    // 00000000C710: 7E2E0366
	ds_write_b128 v5, v[20:23] offset:6336                     // 00000000C714: D9BE18C0 00001405
	v_mov_b32_e32 v20, v91                                     // 00000000C71C: 7E28035B
	v_mov_b32_e32 v21, v95                                     // 00000000C720: 7E2A035F
	v_mov_b32_e32 v22, v99                                     // 00000000C724: 7E2C0363
	v_mov_b32_e32 v23, v103                                    // 00000000C728: 7E2E0367
	ds_write_b128 v5, v[20:23] offset:7392                     // 00000000C72C: D9BE1CE0 00001405
	s_waitcnt lgkmcnt(4)                                       // 00000000C734: BF8CC47F
	ds_read_b128 v[40:43], v4                                  // 00000000C738: D9FE0000 28000004
	ds_read_b128 v[44:47], v4 offset:64                        // 00000000C740: D9FE0040 2C000004
	ds_read_b128 v[48:51], v4 offset:128                       // 00000000C748: D9FE0080 30000004
	ds_read_b128 v[52:55], v4 offset:192                       // 00000000C750: D9FE00C0 34000004
	s_waitcnt lgkmcnt(4)                                       // 00000000C758: BF8CC47F
	ds_read_b128 v[56:59], v4 offset:4224                      // 00000000C75C: D9FE1080 38000004
	ds_read_b128 v[60:63], v4 offset:4288                      // 00000000C764: D9FE10C0 3C000004
	ds_read_b128 v[64:67], v4 offset:4352                      // 00000000C76C: D9FE1100 40000004
	ds_read_b128 v[68:71], v4 offset:4416                      // 00000000C774: D9FE1140 44000004
	s_waitcnt lgkmcnt(0)                                       // 00000000C77C: BF8CC07F
	v_mov_b32_e32 v18, v19                                     // 00000000C780: 7E240313
	buffer_store_dwordx4 v[40:43], v18, s[8:11], 0 offen offset:512// 00000000C784: E07C1200 80022812
	buffer_store_dwordx4 v[56:59], v18, s[8:11], 0 offen offset:768// 00000000C78C: E07C1300 80023812
	v_add_u32_e32 v18, 0x2000, v18                             // 00000000C794: 682424FF 00002000
	buffer_store_dwordx4 v[44:47], v18, s[8:11], 0 offen offset:512// 00000000C79C: E07C1200 80022C12
	buffer_store_dwordx4 v[60:63], v18, s[8:11], 0 offen offset:768// 00000000C7A4: E07C1300 80023C12
	v_add_u32_e32 v18, 0x2000, v18                             // 00000000C7AC: 682424FF 00002000
	buffer_store_dwordx4 v[48:51], v18, s[8:11], 0 offen offset:512// 00000000C7B4: E07C1200 80023012
	buffer_store_dwordx4 v[64:67], v18, s[8:11], 0 offen offset:768// 00000000C7BC: E07C1300 80024012
	v_add_u32_e32 v18, 0x2000, v18                             // 00000000C7C4: 682424FF 00002000
	buffer_store_dwordx4 v[52:55], v18, s[8:11], 0 offen offset:512// 00000000C7CC: E07C1200 80023412
	buffer_store_dwordx4 v[68:71], v18, s[8:11], 0 offen offset:768// 00000000C7D4: E07C1300 80024412
	v_add_u32_e32 v18, 0x2000, v18                             // 00000000C7DC: 682424FF 00002000
	v_mov_b32_e32 v20, v104                                    // 00000000C7E4: 7E280368
	v_mov_b32_e32 v21, v108                                    // 00000000C7E8: 7E2A036C
	v_mov_b32_e32 v22, v112                                    // 00000000C7EC: 7E2C0370
	v_mov_b32_e32 v23, v116                                    // 00000000C7F0: 7E2E0374
	ds_write_b128 v5, v[20:23]                                 // 00000000C7F4: D9BE0000 00001405
	v_mov_b32_e32 v20, v105                                    // 00000000C7FC: 7E280369
	v_mov_b32_e32 v21, v109                                    // 00000000C800: 7E2A036D
	v_mov_b32_e32 v22, v113                                    // 00000000C804: 7E2C0371
	v_mov_b32_e32 v23, v117                                    // 00000000C808: 7E2E0375
	ds_write_b128 v5, v[20:23] offset:1056                     // 00000000C80C: D9BE0420 00001405
	v_mov_b32_e32 v20, v106                                    // 00000000C814: 7E28036A
	v_mov_b32_e32 v21, v110                                    // 00000000C818: 7E2A036E
	v_mov_b32_e32 v22, v114                                    // 00000000C81C: 7E2C0372
	v_mov_b32_e32 v23, v118                                    // 00000000C820: 7E2E0376
	ds_write_b128 v5, v[20:23] offset:2112                     // 00000000C824: D9BE0840 00001405
	v_mov_b32_e32 v20, v107                                    // 00000000C82C: 7E28036B
	v_mov_b32_e32 v21, v111                                    // 00000000C830: 7E2A036F
	v_mov_b32_e32 v22, v115                                    // 00000000C834: 7E2C0373
	v_mov_b32_e32 v23, v119                                    // 00000000C838: 7E2E0377
	ds_write_b128 v5, v[20:23] offset:3168                     // 00000000C83C: D9BE0C60 00001405
	v_mov_b32_e32 v20, v120                                    // 00000000C844: 7E280378
	v_mov_b32_e32 v21, v124                                    // 00000000C848: 7E2A037C
	v_mov_b32_e32 v22, v128                                    // 00000000C84C: 7E2C0380
	v_mov_b32_e32 v23, v132                                    // 00000000C850: 7E2E0384
	ds_write_b128 v5, v[20:23] offset:4224                     // 00000000C854: D9BE1080 00001405
	v_mov_b32_e32 v20, v121                                    // 00000000C85C: 7E280379
	v_mov_b32_e32 v21, v125                                    // 00000000C860: 7E2A037D
	v_mov_b32_e32 v22, v129                                    // 00000000C864: 7E2C0381
	v_mov_b32_e32 v23, v133                                    // 00000000C868: 7E2E0385
	ds_write_b128 v5, v[20:23] offset:5280                     // 00000000C86C: D9BE14A0 00001405
	v_mov_b32_e32 v20, v122                                    // 00000000C874: 7E28037A
	v_mov_b32_e32 v21, v126                                    // 00000000C878: 7E2A037E
	v_mov_b32_e32 v22, v130                                    // 00000000C87C: 7E2C0382
	v_mov_b32_e32 v23, v134                                    // 00000000C880: 7E2E0386
	ds_write_b128 v5, v[20:23] offset:6336                     // 00000000C884: D9BE18C0 00001405
	v_mov_b32_e32 v20, v123                                    // 00000000C88C: 7E28037B
	v_mov_b32_e32 v21, v127                                    // 00000000C890: 7E2A037F
	v_mov_b32_e32 v22, v131                                    // 00000000C894: 7E2C0383
	v_mov_b32_e32 v23, v135                                    // 00000000C898: 7E2E0387
	ds_write_b128 v5, v[20:23] offset:7392                     // 00000000C89C: D9BE1CE0 00001405
	s_waitcnt lgkmcnt(4)                                       // 00000000C8A4: BF8CC47F
	ds_read_b128 v[40:43], v4                                  // 00000000C8A8: D9FE0000 28000004
	ds_read_b128 v[44:47], v4 offset:64                        // 00000000C8B0: D9FE0040 2C000004
	ds_read_b128 v[48:51], v4 offset:128                       // 00000000C8B8: D9FE0080 30000004
	ds_read_b128 v[52:55], v4 offset:192                       // 00000000C8C0: D9FE00C0 34000004
	s_waitcnt lgkmcnt(4)                                       // 00000000C8C8: BF8CC47F
	ds_read_b128 v[56:59], v4 offset:4224                      // 00000000C8CC: D9FE1080 38000004
	ds_read_b128 v[60:63], v4 offset:4288                      // 00000000C8D4: D9FE10C0 3C000004
	ds_read_b128 v[64:67], v4 offset:4352                      // 00000000C8DC: D9FE1100 40000004
	ds_read_b128 v[68:71], v4 offset:4416                      // 00000000C8E4: D9FE1140 44000004
	s_waitcnt lgkmcnt(0)                                       // 00000000C8EC: BF8CC07F
	v_mov_b32_e32 v18, v19                                     // 00000000C8F0: 7E240313
	buffer_store_dwordx4 v[40:43], v18, s[8:11], 0 offen offset:1024// 00000000C8F4: E07C1400 80022812
	buffer_store_dwordx4 v[56:59], v18, s[8:11], 0 offen offset:1280// 00000000C8FC: E07C1500 80023812
	v_add_u32_e32 v18, 0x2000, v18                             // 00000000C904: 682424FF 00002000
	buffer_store_dwordx4 v[44:47], v18, s[8:11], 0 offen offset:1024// 00000000C90C: E07C1400 80022C12
	buffer_store_dwordx4 v[60:63], v18, s[8:11], 0 offen offset:1280// 00000000C914: E07C1500 80023C12
	v_add_u32_e32 v18, 0x2000, v18                             // 00000000C91C: 682424FF 00002000
	buffer_store_dwordx4 v[48:51], v18, s[8:11], 0 offen offset:1024// 00000000C924: E07C1400 80023012
	buffer_store_dwordx4 v[64:67], v18, s[8:11], 0 offen offset:1280// 00000000C92C: E07C1500 80024012
	v_add_u32_e32 v18, 0x2000, v18                             // 00000000C934: 682424FF 00002000
	buffer_store_dwordx4 v[52:55], v18, s[8:11], 0 offen offset:1024// 00000000C93C: E07C1400 80023412
	buffer_store_dwordx4 v[68:71], v18, s[8:11], 0 offen offset:1280// 00000000C944: E07C1500 80024412
	v_add_u32_e32 v18, 0x2000, v18                             // 00000000C94C: 682424FF 00002000
	v_mov_b32_e32 v20, v136                                    // 00000000C954: 7E280388
	v_mov_b32_e32 v21, v140                                    // 00000000C958: 7E2A038C
	v_mov_b32_e32 v22, v144                                    // 00000000C95C: 7E2C0390
	v_accvgpr_read_b32 v23, a216                               // 00000000C960: D3D84017 180001D8
	ds_write_b128 v5, v[20:23]                                 // 00000000C968: D9BE0000 00001405
	v_mov_b32_e32 v20, v137                                    // 00000000C970: 7E280389
	v_mov_b32_e32 v21, v141                                    // 00000000C974: 7E2A038D
	v_mov_b32_e32 v22, v145                                    // 00000000C978: 7E2C0391
	v_accvgpr_read_b32 v23, a217                               // 00000000C97C: D3D84017 180001D9
	ds_write_b128 v5, v[20:23] offset:1056                     // 00000000C984: D9BE0420 00001405
	v_mov_b32_e32 v20, v138                                    // 00000000C98C: 7E28038A
	v_mov_b32_e32 v21, v142                                    // 00000000C990: 7E2A038E
	v_mov_b32_e32 v22, v146                                    // 00000000C994: 7E2C0392
	v_accvgpr_read_b32 v23, a218                               // 00000000C998: D3D84017 180001DA
	ds_write_b128 v5, v[20:23] offset:2112                     // 00000000C9A0: D9BE0840 00001405
	v_mov_b32_e32 v20, v139                                    // 00000000C9A8: 7E28038B
	v_mov_b32_e32 v21, v143                                    // 00000000C9AC: 7E2A038F
	v_mov_b32_e32 v22, v147                                    // 00000000C9B0: 7E2C0393
	v_accvgpr_read_b32 v23, a219                               // 00000000C9B4: D3D84017 180001DB
	ds_write_b128 v5, v[20:23] offset:3168                     // 00000000C9BC: D9BE0C60 00001405
	v_accvgpr_read_b32 v20, a220                               // 00000000C9C4: D3D84014 180001DC
	v_accvgpr_read_b32 v21, a224                               // 00000000C9CC: D3D84015 180001E0
	v_accvgpr_read_b32 v22, a228                               // 00000000C9D4: D3D84016 180001E4
	v_accvgpr_read_b32 v23, a232                               // 00000000C9DC: D3D84017 180001E8
	ds_write_b128 v5, v[20:23] offset:4224                     // 00000000C9E4: D9BE1080 00001405
	v_accvgpr_read_b32 v20, a221                               // 00000000C9EC: D3D84014 180001DD
	v_accvgpr_read_b32 v21, a225                               // 00000000C9F4: D3D84015 180001E1
	v_accvgpr_read_b32 v22, a229                               // 00000000C9FC: D3D84016 180001E5
	v_accvgpr_read_b32 v23, a233                               // 00000000CA04: D3D84017 180001E9
	ds_write_b128 v5, v[20:23] offset:5280                     // 00000000CA0C: D9BE14A0 00001405
	v_accvgpr_read_b32 v20, a222                               // 00000000CA14: D3D84014 180001DE
	v_accvgpr_read_b32 v21, a226                               // 00000000CA1C: D3D84015 180001E2
	v_accvgpr_read_b32 v22, a230                               // 00000000CA24: D3D84016 180001E6
	v_accvgpr_read_b32 v23, a234                               // 00000000CA2C: D3D84017 180001EA
	ds_write_b128 v5, v[20:23] offset:6336                     // 00000000CA34: D9BE18C0 00001405
	v_accvgpr_read_b32 v20, a223                               // 00000000CA3C: D3D84014 180001DF
	v_accvgpr_read_b32 v21, a227                               // 00000000CA44: D3D84015 180001E3
	v_accvgpr_read_b32 v22, a231                               // 00000000CA4C: D3D84016 180001E7
	v_accvgpr_read_b32 v23, a235                               // 00000000CA54: D3D84017 180001EB
	ds_write_b128 v5, v[20:23] offset:7392                     // 00000000CA5C: D9BE1CE0 00001405
	s_waitcnt lgkmcnt(4)                                       // 00000000CA64: BF8CC47F
	ds_read_b128 v[40:43], v4                                  // 00000000CA68: D9FE0000 28000004
	ds_read_b128 v[44:47], v4 offset:64                        // 00000000CA70: D9FE0040 2C000004
	ds_read_b128 v[48:51], v4 offset:128                       // 00000000CA78: D9FE0080 30000004
	ds_read_b128 v[52:55], v4 offset:192                       // 00000000CA80: D9FE00C0 34000004
	s_waitcnt lgkmcnt(4)                                       // 00000000CA88: BF8CC47F
	ds_read_b128 v[56:59], v4 offset:4224                      // 00000000CA8C: D9FE1080 38000004
	ds_read_b128 v[60:63], v4 offset:4288                      // 00000000CA94: D9FE10C0 3C000004
	ds_read_b128 v[64:67], v4 offset:4352                      // 00000000CA9C: D9FE1100 40000004
	ds_read_b128 v[68:71], v4 offset:4416                      // 00000000CAA4: D9FE1140 44000004
	s_waitcnt lgkmcnt(0)                                       // 00000000CAAC: BF8CC07F
	v_mov_b32_e32 v18, v19                                     // 00000000CAB0: 7E240313
	buffer_store_dwordx4 v[40:43], v18, s[8:11], 0 offen offset:1536// 00000000CAB4: E07C1600 80022812
	buffer_store_dwordx4 v[56:59], v18, s[8:11], 0 offen offset:1792// 00000000CABC: E07C1700 80023812
	v_add_u32_e32 v18, 0x2000, v18                             // 00000000CAC4: 682424FF 00002000
	buffer_store_dwordx4 v[44:47], v18, s[8:11], 0 offen offset:1536// 00000000CACC: E07C1600 80022C12
	buffer_store_dwordx4 v[60:63], v18, s[8:11], 0 offen offset:1792// 00000000CAD4: E07C1700 80023C12
	v_add_u32_e32 v18, 0x2000, v18                             // 00000000CADC: 682424FF 00002000
	buffer_store_dwordx4 v[48:51], v18, s[8:11], 0 offen offset:1536// 00000000CAE4: E07C1600 80023012
	buffer_store_dwordx4 v[64:67], v18, s[8:11], 0 offen offset:1792// 00000000CAEC: E07C1700 80024012
	v_add_u32_e32 v18, 0x2000, v18                             // 00000000CAF4: 682424FF 00002000
	buffer_store_dwordx4 v[52:55], v18, s[8:11], 0 offen offset:1536// 00000000CAFC: E07C1600 80023412
	buffer_store_dwordx4 v[68:71], v18, s[8:11], 0 offen offset:1792// 00000000CB04: E07C1700 80024412
	v_add_u32_e32 v18, 0x2000, v18                             // 00000000CB0C: 682424FF 00002000
	buffer_store_dword v24, v26, s[12:15], 0 offen             // 00000000CB14: E0701000 8003181A
	s_mov_b32 s56, 0x100                                       // 00000000CB1C: BEB800FF 00000100
	v_add_u32_e64 v26, v26, s56                                // 00000000CB24: D134001A 0000711A
	s_mov_b32 s56, 0x20000                                     // 00000000CB2C: BEB800FF 00020000
	v_add_u32_e64 v19, v19, s56                                // 00000000CB34: D1340013 00007113
	v_mov_b32_e32 v20, v148                                    // 00000000CB3C: 7E280394
	v_mov_b32_e32 v21, v152                                    // 00000000CB40: 7E2A0398
	v_mov_b32_e32 v22, v156                                    // 00000000CB44: 7E2C039C
	v_mov_b32_e32 v23, v160                                    // 00000000CB48: 7E2E03A0
	ds_write_b128 v5, v[20:23]                                 // 00000000CB4C: D9BE0000 00001405
	v_mov_b32_e32 v20, v149                                    // 00000000CB54: 7E280395
	v_mov_b32_e32 v21, v153                                    // 00000000CB58: 7E2A0399
	v_mov_b32_e32 v22, v157                                    // 00000000CB5C: 7E2C039D
	v_mov_b32_e32 v23, v161                                    // 00000000CB60: 7E2E03A1
	ds_write_b128 v5, v[20:23] offset:1056                     // 00000000CB64: D9BE0420 00001405
	v_mov_b32_e32 v20, v150                                    // 00000000CB6C: 7E280396
	v_mov_b32_e32 v21, v154                                    // 00000000CB70: 7E2A039A
	v_mov_b32_e32 v22, v158                                    // 00000000CB74: 7E2C039E
	v_mov_b32_e32 v23, v162                                    // 00000000CB78: 7E2E03A2
	ds_write_b128 v5, v[20:23] offset:2112                     // 00000000CB7C: D9BE0840 00001405
	v_mov_b32_e32 v20, v151                                    // 00000000CB84: 7E280397
	v_mov_b32_e32 v21, v155                                    // 00000000CB88: 7E2A039B
	v_mov_b32_e32 v22, v159                                    // 00000000CB8C: 7E2C039F
	v_mov_b32_e32 v23, v163                                    // 00000000CB90: 7E2E03A3
	ds_write_b128 v5, v[20:23] offset:3168                     // 00000000CB94: D9BE0C60 00001405
	v_mov_b32_e32 v20, v164                                    // 00000000CB9C: 7E2803A4
	v_mov_b32_e32 v21, v168                                    // 00000000CBA0: 7E2A03A8
	v_mov_b32_e32 v22, v172                                    // 00000000CBA4: 7E2C03AC
	v_mov_b32_e32 v23, v176                                    // 00000000CBA8: 7E2E03B0
	ds_write_b128 v5, v[20:23] offset:4224                     // 00000000CBAC: D9BE1080 00001405
	v_mov_b32_e32 v20, v165                                    // 00000000CBB4: 7E2803A5
	v_mov_b32_e32 v21, v169                                    // 00000000CBB8: 7E2A03A9
	v_mov_b32_e32 v22, v173                                    // 00000000CBBC: 7E2C03AD
	v_mov_b32_e32 v23, v177                                    // 00000000CBC0: 7E2E03B1
	ds_write_b128 v5, v[20:23] offset:5280                     // 00000000CBC4: D9BE14A0 00001405
	v_mov_b32_e32 v20, v166                                    // 00000000CBCC: 7E2803A6
	v_mov_b32_e32 v21, v170                                    // 00000000CBD0: 7E2A03AA
	v_mov_b32_e32 v22, v174                                    // 00000000CBD4: 7E2C03AE
	v_mov_b32_e32 v23, v178                                    // 00000000CBD8: 7E2E03B2
	ds_write_b128 v5, v[20:23] offset:6336                     // 00000000CBDC: D9BE18C0 00001405
	v_mov_b32_e32 v20, v167                                    // 00000000CBE4: 7E2803A7
	v_mov_b32_e32 v21, v171                                    // 00000000CBE8: 7E2A03AB
	v_mov_b32_e32 v22, v175                                    // 00000000CBEC: 7E2C03AF
	v_mov_b32_e32 v23, v179                                    // 00000000CBF0: 7E2E03B3
	ds_write_b128 v5, v[20:23] offset:7392                     // 00000000CBF4: D9BE1CE0 00001405
	s_waitcnt lgkmcnt(4)                                       // 00000000CBFC: BF8CC47F
	ds_read_b128 v[40:43], v4                                  // 00000000CC00: D9FE0000 28000004
	ds_read_b128 v[44:47], v4 offset:64                        // 00000000CC08: D9FE0040 2C000004
	ds_read_b128 v[48:51], v4 offset:128                       // 00000000CC10: D9FE0080 30000004
	ds_read_b128 v[52:55], v4 offset:192                       // 00000000CC18: D9FE00C0 34000004
	s_waitcnt lgkmcnt(4)                                       // 00000000CC20: BF8CC47F
	ds_read_b128 v[56:59], v4 offset:4224                      // 00000000CC24: D9FE1080 38000004
	ds_read_b128 v[60:63], v4 offset:4288                      // 00000000CC2C: D9FE10C0 3C000004
	ds_read_b128 v[64:67], v4 offset:4352                      // 00000000CC34: D9FE1100 40000004
	ds_read_b128 v[68:71], v4 offset:4416                      // 00000000CC3C: D9FE1140 44000004
	s_waitcnt lgkmcnt(0)                                       // 00000000CC44: BF8CC07F
	v_mov_b32_e32 v18, v19                                     // 00000000CC48: 7E240313
	buffer_store_dwordx4 v[40:43], v18, s[8:11], 0 offen       // 00000000CC4C: E07C1000 80022812
	buffer_store_dwordx4 v[56:59], v18, s[8:11], 0 offen offset:256// 00000000CC54: E07C1100 80023812
	v_add_u32_e32 v18, 0x2000, v18                             // 00000000CC5C: 682424FF 00002000
	buffer_store_dwordx4 v[44:47], v18, s[8:11], 0 offen       // 00000000CC64: E07C1000 80022C12
	buffer_store_dwordx4 v[60:63], v18, s[8:11], 0 offen offset:256// 00000000CC6C: E07C1100 80023C12
	v_add_u32_e32 v18, 0x2000, v18                             // 00000000CC74: 682424FF 00002000
	buffer_store_dwordx4 v[48:51], v18, s[8:11], 0 offen       // 00000000CC7C: E07C1000 80023012
	buffer_store_dwordx4 v[64:67], v18, s[8:11], 0 offen offset:256// 00000000CC84: E07C1100 80024012
	v_add_u32_e32 v18, 0x2000, v18                             // 00000000CC8C: 682424FF 00002000
	buffer_store_dwordx4 v[52:55], v18, s[8:11], 0 offen       // 00000000CC94: E07C1000 80023412
	buffer_store_dwordx4 v[68:71], v18, s[8:11], 0 offen offset:256// 00000000CC9C: E07C1100 80024412
	v_add_u32_e32 v18, 0x2000, v18                             // 00000000CCA4: 682424FF 00002000
	v_mov_b32_e32 v20, v180                                    // 00000000CCAC: 7E2803B4
	v_mov_b32_e32 v21, v184                                    // 00000000CCB0: 7E2A03B8
	v_mov_b32_e32 v22, v188                                    // 00000000CCB4: 7E2C03BC
	v_mov_b32_e32 v23, v192                                    // 00000000CCB8: 7E2E03C0
	ds_write_b128 v5, v[20:23]                                 // 00000000CCBC: D9BE0000 00001405
	v_mov_b32_e32 v20, v181                                    // 00000000CCC4: 7E2803B5
	v_mov_b32_e32 v21, v185                                    // 00000000CCC8: 7E2A03B9
	v_mov_b32_e32 v22, v189                                    // 00000000CCCC: 7E2C03BD
	v_mov_b32_e32 v23, v193                                    // 00000000CCD0: 7E2E03C1
	ds_write_b128 v5, v[20:23] offset:1056                     // 00000000CCD4: D9BE0420 00001405
	v_mov_b32_e32 v20, v182                                    // 00000000CCDC: 7E2803B6
	v_mov_b32_e32 v21, v186                                    // 00000000CCE0: 7E2A03BA
	v_mov_b32_e32 v22, v190                                    // 00000000CCE4: 7E2C03BE
	v_mov_b32_e32 v23, v194                                    // 00000000CCE8: 7E2E03C2
	ds_write_b128 v5, v[20:23] offset:2112                     // 00000000CCEC: D9BE0840 00001405
	v_mov_b32_e32 v20, v183                                    // 00000000CCF4: 7E2803B7
	v_mov_b32_e32 v21, v187                                    // 00000000CCF8: 7E2A03BB
	v_mov_b32_e32 v22, v191                                    // 00000000CCFC: 7E2C03BF
	v_mov_b32_e32 v23, v195                                    // 00000000CD00: 7E2E03C3
	ds_write_b128 v5, v[20:23] offset:3168                     // 00000000CD04: D9BE0C60 00001405
	v_mov_b32_e32 v20, v196                                    // 00000000CD0C: 7E2803C4
	v_mov_b32_e32 v21, v200                                    // 00000000CD10: 7E2A03C8
	v_mov_b32_e32 v22, v204                                    // 00000000CD14: 7E2C03CC
	v_mov_b32_e32 v23, v208                                    // 00000000CD18: 7E2E03D0
	ds_write_b128 v5, v[20:23] offset:4224                     // 00000000CD1C: D9BE1080 00001405
	v_mov_b32_e32 v20, v197                                    // 00000000CD24: 7E2803C5
	v_mov_b32_e32 v21, v201                                    // 00000000CD28: 7E2A03C9
	v_mov_b32_e32 v22, v205                                    // 00000000CD2C: 7E2C03CD
	v_mov_b32_e32 v23, v209                                    // 00000000CD30: 7E2E03D1
	ds_write_b128 v5, v[20:23] offset:5280                     // 00000000CD34: D9BE14A0 00001405
	v_mov_b32_e32 v20, v198                                    // 00000000CD3C: 7E2803C6
	v_mov_b32_e32 v21, v202                                    // 00000000CD40: 7E2A03CA
	v_mov_b32_e32 v22, v206                                    // 00000000CD44: 7E2C03CE
	v_mov_b32_e32 v23, v210                                    // 00000000CD48: 7E2E03D2
	ds_write_b128 v5, v[20:23] offset:6336                     // 00000000CD4C: D9BE18C0 00001405
	v_mov_b32_e32 v20, v199                                    // 00000000CD54: 7E2803C7
	v_mov_b32_e32 v21, v203                                    // 00000000CD58: 7E2A03CB
	v_mov_b32_e32 v22, v207                                    // 00000000CD5C: 7E2C03CF
	v_mov_b32_e32 v23, v211                                    // 00000000CD60: 7E2E03D3
	ds_write_b128 v5, v[20:23] offset:7392                     // 00000000CD64: D9BE1CE0 00001405
	s_waitcnt lgkmcnt(4)                                       // 00000000CD6C: BF8CC47F
	ds_read_b128 v[40:43], v4                                  // 00000000CD70: D9FE0000 28000004
	ds_read_b128 v[44:47], v4 offset:64                        // 00000000CD78: D9FE0040 2C000004
	ds_read_b128 v[48:51], v4 offset:128                       // 00000000CD80: D9FE0080 30000004
	ds_read_b128 v[52:55], v4 offset:192                       // 00000000CD88: D9FE00C0 34000004
	s_waitcnt lgkmcnt(4)                                       // 00000000CD90: BF8CC47F
	ds_read_b128 v[56:59], v4 offset:4224                      // 00000000CD94: D9FE1080 38000004
	ds_read_b128 v[60:63], v4 offset:4288                      // 00000000CD9C: D9FE10C0 3C000004
	ds_read_b128 v[64:67], v4 offset:4352                      // 00000000CDA4: D9FE1100 40000004
	ds_read_b128 v[68:71], v4 offset:4416                      // 00000000CDAC: D9FE1140 44000004
	s_waitcnt lgkmcnt(0)                                       // 00000000CDB4: BF8CC07F
	v_mov_b32_e32 v18, v19                                     // 00000000CDB8: 7E240313
	buffer_store_dwordx4 v[40:43], v18, s[8:11], 0 offen offset:512// 00000000CDBC: E07C1200 80022812
	buffer_store_dwordx4 v[56:59], v18, s[8:11], 0 offen offset:768// 00000000CDC4: E07C1300 80023812
	v_add_u32_e32 v18, 0x2000, v18                             // 00000000CDCC: 682424FF 00002000
	buffer_store_dwordx4 v[44:47], v18, s[8:11], 0 offen offset:512// 00000000CDD4: E07C1200 80022C12
	buffer_store_dwordx4 v[60:63], v18, s[8:11], 0 offen offset:768// 00000000CDDC: E07C1300 80023C12
	v_add_u32_e32 v18, 0x2000, v18                             // 00000000CDE4: 682424FF 00002000
	buffer_store_dwordx4 v[48:51], v18, s[8:11], 0 offen offset:512// 00000000CDEC: E07C1200 80023012
	buffer_store_dwordx4 v[64:67], v18, s[8:11], 0 offen offset:768// 00000000CDF4: E07C1300 80024012
	v_add_u32_e32 v18, 0x2000, v18                             // 00000000CDFC: 682424FF 00002000
	buffer_store_dwordx4 v[52:55], v18, s[8:11], 0 offen offset:512// 00000000CE04: E07C1200 80023412
	buffer_store_dwordx4 v[68:71], v18, s[8:11], 0 offen offset:768// 00000000CE0C: E07C1300 80024412
	v_add_u32_e32 v18, 0x2000, v18                             // 00000000CE14: 682424FF 00002000
	v_mov_b32_e32 v20, v212                                    // 00000000CE1C: 7E2803D4
	v_mov_b32_e32 v21, v216                                    // 00000000CE20: 7E2A03D8
	v_mov_b32_e32 v22, v220                                    // 00000000CE24: 7E2C03DC
	v_mov_b32_e32 v23, v224                                    // 00000000CE28: 7E2E03E0
	ds_write_b128 v5, v[20:23]                                 // 00000000CE2C: D9BE0000 00001405
	v_mov_b32_e32 v20, v213                                    // 00000000CE34: 7E2803D5
	v_mov_b32_e32 v21, v217                                    // 00000000CE38: 7E2A03D9
	v_mov_b32_e32 v22, v221                                    // 00000000CE3C: 7E2C03DD
	v_mov_b32_e32 v23, v225                                    // 00000000CE40: 7E2E03E1
	ds_write_b128 v5, v[20:23] offset:1056                     // 00000000CE44: D9BE0420 00001405
	v_mov_b32_e32 v20, v214                                    // 00000000CE4C: 7E2803D6
	v_mov_b32_e32 v21, v218                                    // 00000000CE50: 7E2A03DA
	v_mov_b32_e32 v22, v222                                    // 00000000CE54: 7E2C03DE
	v_mov_b32_e32 v23, v226                                    // 00000000CE58: 7E2E03E2
	ds_write_b128 v5, v[20:23] offset:2112                     // 00000000CE5C: D9BE0840 00001405
	v_mov_b32_e32 v20, v215                                    // 00000000CE64: 7E2803D7
	v_mov_b32_e32 v21, v219                                    // 00000000CE68: 7E2A03DB
	v_mov_b32_e32 v22, v223                                    // 00000000CE6C: 7E2C03DF
	v_mov_b32_e32 v23, v227                                    // 00000000CE70: 7E2E03E3
	ds_write_b128 v5, v[20:23] offset:3168                     // 00000000CE74: D9BE0C60 00001405
	v_mov_b32_e32 v20, v228                                    // 00000000CE7C: 7E2803E4
	v_mov_b32_e32 v21, v232                                    // 00000000CE80: 7E2A03E8
	v_mov_b32_e32 v22, v236                                    // 00000000CE84: 7E2C03EC
	v_mov_b32_e32 v23, v240                                    // 00000000CE88: 7E2E03F0
	ds_write_b128 v5, v[20:23] offset:4224                     // 00000000CE8C: D9BE1080 00001405
	v_mov_b32_e32 v20, v229                                    // 00000000CE94: 7E2803E5
	v_mov_b32_e32 v21, v233                                    // 00000000CE98: 7E2A03E9
	v_mov_b32_e32 v22, v237                                    // 00000000CE9C: 7E2C03ED
	v_mov_b32_e32 v23, v241                                    // 00000000CEA0: 7E2E03F1
	ds_write_b128 v5, v[20:23] offset:5280                     // 00000000CEA4: D9BE14A0 00001405
	v_mov_b32_e32 v20, v230                                    // 00000000CEAC: 7E2803E6
	v_mov_b32_e32 v21, v234                                    // 00000000CEB0: 7E2A03EA
	v_mov_b32_e32 v22, v238                                    // 00000000CEB4: 7E2C03EE
	v_mov_b32_e32 v23, v242                                    // 00000000CEB8: 7E2E03F2
	ds_write_b128 v5, v[20:23] offset:6336                     // 00000000CEBC: D9BE18C0 00001405
	v_mov_b32_e32 v20, v231                                    // 00000000CEC4: 7E2803E7
	v_mov_b32_e32 v21, v235                                    // 00000000CEC8: 7E2A03EB
	v_mov_b32_e32 v22, v239                                    // 00000000CECC: 7E2C03EF
	v_mov_b32_e32 v23, v243                                    // 00000000CED0: 7E2E03F3
	ds_write_b128 v5, v[20:23] offset:7392                     // 00000000CED4: D9BE1CE0 00001405
	s_waitcnt lgkmcnt(4)                                       // 00000000CEDC: BF8CC47F
	ds_read_b128 v[40:43], v4                                  // 00000000CEE0: D9FE0000 28000004
	ds_read_b128 v[44:47], v4 offset:64                        // 00000000CEE8: D9FE0040 2C000004
	ds_read_b128 v[48:51], v4 offset:128                       // 00000000CEF0: D9FE0080 30000004
	ds_read_b128 v[52:55], v4 offset:192                       // 00000000CEF8: D9FE00C0 34000004
	s_waitcnt lgkmcnt(4)                                       // 00000000CF00: BF8CC47F
	ds_read_b128 v[56:59], v4 offset:4224                      // 00000000CF04: D9FE1080 38000004
	ds_read_b128 v[60:63], v4 offset:4288                      // 00000000CF0C: D9FE10C0 3C000004
	ds_read_b128 v[64:67], v4 offset:4352                      // 00000000CF14: D9FE1100 40000004
	ds_read_b128 v[68:71], v4 offset:4416                      // 00000000CF1C: D9FE1140 44000004
	s_waitcnt lgkmcnt(0)                                       // 00000000CF24: BF8CC07F
	v_mov_b32_e32 v18, v19                                     // 00000000CF28: 7E240313
	buffer_store_dwordx4 v[40:43], v18, s[8:11], 0 offen offset:1024// 00000000CF2C: E07C1400 80022812
	buffer_store_dwordx4 v[56:59], v18, s[8:11], 0 offen offset:1280// 00000000CF34: E07C1500 80023812
	v_add_u32_e32 v18, 0x2000, v18                             // 00000000CF3C: 682424FF 00002000
	buffer_store_dwordx4 v[44:47], v18, s[8:11], 0 offen offset:1024// 00000000CF44: E07C1400 80022C12
	buffer_store_dwordx4 v[60:63], v18, s[8:11], 0 offen offset:1280// 00000000CF4C: E07C1500 80023C12
	v_add_u32_e32 v18, 0x2000, v18                             // 00000000CF54: 682424FF 00002000
	buffer_store_dwordx4 v[48:51], v18, s[8:11], 0 offen offset:1024// 00000000CF5C: E07C1400 80023012
	buffer_store_dwordx4 v[64:67], v18, s[8:11], 0 offen offset:1280// 00000000CF64: E07C1500 80024012
	v_add_u32_e32 v18, 0x2000, v18                             // 00000000CF6C: 682424FF 00002000
	buffer_store_dwordx4 v[52:55], v18, s[8:11], 0 offen offset:1024// 00000000CF74: E07C1400 80023412
	buffer_store_dwordx4 v[68:71], v18, s[8:11], 0 offen offset:1280// 00000000CF7C: E07C1500 80024412
	v_add_u32_e32 v18, 0x2000, v18                             // 00000000CF84: 682424FF 00002000
	v_mov_b32_e32 v20, v244                                    // 00000000CF8C: 7E2803F4
	v_mov_b32_e32 v21, v248                                    // 00000000CF90: 7E2A03F8
	v_mov_b32_e32 v22, v252                                    // 00000000CF94: 7E2C03FC
	v_accvgpr_read_b32 v23, a236                               // 00000000CF98: D3D84017 180001EC
	ds_write_b128 v5, v[20:23]                                 // 00000000CFA0: D9BE0000 00001405
	v_mov_b32_e32 v20, v245                                    // 00000000CFA8: 7E2803F5
	v_mov_b32_e32 v21, v249                                    // 00000000CFAC: 7E2A03F9
	v_mov_b32_e32 v22, v253                                    // 00000000CFB0: 7E2C03FD
	v_accvgpr_read_b32 v23, a237                               // 00000000CFB4: D3D84017 180001ED
	ds_write_b128 v5, v[20:23] offset:1056                     // 00000000CFBC: D9BE0420 00001405
	v_mov_b32_e32 v20, v246                                    // 00000000CFC4: 7E2803F6
	v_mov_b32_e32 v21, v250                                    // 00000000CFC8: 7E2A03FA
	v_mov_b32_e32 v22, v254                                    // 00000000CFCC: 7E2C03FE
	v_accvgpr_read_b32 v23, a238                               // 00000000CFD0: D3D84017 180001EE
	ds_write_b128 v5, v[20:23] offset:2112                     // 00000000CFD8: D9BE0840 00001405
	v_mov_b32_e32 v20, v247                                    // 00000000CFE0: 7E2803F7
	v_mov_b32_e32 v21, v251                                    // 00000000CFE4: 7E2A03FB
	v_mov_b32_e32 v22, v255                                    // 00000000CFE8: 7E2C03FF
	v_accvgpr_read_b32 v23, a239                               // 00000000CFEC: D3D84017 180001EF
	ds_write_b128 v5, v[20:23] offset:3168                     // 00000000CFF4: D9BE0C60 00001405
	v_accvgpr_read_b32 v20, a240                               // 00000000CFFC: D3D84014 180001F0
	v_accvgpr_read_b32 v21, a244                               // 00000000D004: D3D84015 180001F4
	v_accvgpr_read_b32 v22, a248                               // 00000000D00C: D3D84016 180001F8
	v_accvgpr_read_b32 v23, a252                               // 00000000D014: D3D84017 180001FC
	ds_write_b128 v5, v[20:23] offset:4224                     // 00000000D01C: D9BE1080 00001405
	v_accvgpr_read_b32 v20, a241                               // 00000000D024: D3D84014 180001F1
	v_accvgpr_read_b32 v21, a245                               // 00000000D02C: D3D84015 180001F5
	v_accvgpr_read_b32 v22, a249                               // 00000000D034: D3D84016 180001F9
	v_accvgpr_read_b32 v23, a253                               // 00000000D03C: D3D84017 180001FD
	ds_write_b128 v5, v[20:23] offset:5280                     // 00000000D044: D9BE14A0 00001405
	v_accvgpr_read_b32 v20, a242                               // 00000000D04C: D3D84014 180001F2
	v_accvgpr_read_b32 v21, a246                               // 00000000D054: D3D84015 180001F6
	v_accvgpr_read_b32 v22, a250                               // 00000000D05C: D3D84016 180001FA
	v_accvgpr_read_b32 v23, a254                               // 00000000D064: D3D84017 180001FE
	ds_write_b128 v5, v[20:23] offset:6336                     // 00000000D06C: D9BE18C0 00001405
	v_accvgpr_read_b32 v20, a243                               // 00000000D074: D3D84014 180001F3
	v_accvgpr_read_b32 v21, a247                               // 00000000D07C: D3D84015 180001F7
	v_accvgpr_read_b32 v22, a251                               // 00000000D084: D3D84016 180001FB
	v_accvgpr_read_b32 v23, a255                               // 00000000D08C: D3D84017 180001FF
	ds_write_b128 v5, v[20:23] offset:7392                     // 00000000D094: D9BE1CE0 00001405
	s_waitcnt lgkmcnt(4)                                       // 00000000D09C: BF8CC47F
	ds_read_b128 v[40:43], v4                                  // 00000000D0A0: D9FE0000 28000004
	ds_read_b128 v[44:47], v4 offset:64                        // 00000000D0A8: D9FE0040 2C000004
	ds_read_b128 v[48:51], v4 offset:128                       // 00000000D0B0: D9FE0080 30000004
	ds_read_b128 v[52:55], v4 offset:192                       // 00000000D0B8: D9FE00C0 34000004
	s_waitcnt lgkmcnt(4)                                       // 00000000D0C0: BF8CC47F
	ds_read_b128 v[56:59], v4 offset:4224                      // 00000000D0C4: D9FE1080 38000004
	ds_read_b128 v[60:63], v4 offset:4288                      // 00000000D0CC: D9FE10C0 3C000004
	ds_read_b128 v[64:67], v4 offset:4352                      // 00000000D0D4: D9FE1100 40000004
	ds_read_b128 v[68:71], v4 offset:4416                      // 00000000D0DC: D9FE1140 44000004
	s_waitcnt lgkmcnt(0)                                       // 00000000D0E4: BF8CC07F
	v_mov_b32_e32 v18, v19                                     // 00000000D0E8: 7E240313
	buffer_store_dwordx4 v[40:43], v18, s[8:11], 0 offen offset:1536// 00000000D0EC: E07C1600 80022812
	buffer_store_dwordx4 v[56:59], v18, s[8:11], 0 offen offset:1792// 00000000D0F4: E07C1700 80023812
	v_add_u32_e32 v18, 0x2000, v18                             // 00000000D0FC: 682424FF 00002000
	buffer_store_dwordx4 v[44:47], v18, s[8:11], 0 offen offset:1536// 00000000D104: E07C1600 80022C12
	buffer_store_dwordx4 v[60:63], v18, s[8:11], 0 offen offset:1792// 00000000D10C: E07C1700 80023C12
	v_add_u32_e32 v18, 0x2000, v18                             // 00000000D114: 682424FF 00002000
	buffer_store_dwordx4 v[48:51], v18, s[8:11], 0 offen offset:1536// 00000000D11C: E07C1600 80023012
	buffer_store_dwordx4 v[64:67], v18, s[8:11], 0 offen offset:1792// 00000000D124: E07C1700 80024012
	v_add_u32_e32 v18, 0x2000, v18                             // 00000000D12C: 682424FF 00002000
	buffer_store_dwordx4 v[52:55], v18, s[8:11], 0 offen offset:1536// 00000000D134: E07C1600 80023412
	buffer_store_dwordx4 v[68:71], v18, s[8:11], 0 offen offset:1792// 00000000D13C: E07C1700 80024412
	v_add_u32_e32 v18, 0x2000, v18                             // 00000000D144: 682424FF 00002000
	buffer_store_dword v25, v26, s[12:15], 0 offen             // 00000000D14C: E0701000 8003191A
	s_mov_b32 s56, 0x100                                       // 00000000D154: BEB800FF 00000100
	v_add_u32_e64 v26, v26, s56                                // 00000000D15C: D134001A 0000711A

000000000000d164 <label_3059>:
	s_waitcnt vmcnt(0) expcnt(0) lgkmcnt(0)                    // 00000000D164: BF8C0000
	s_endpgm                                                   // 00000000D168: BF810000
